;; amdgpu-corpus repo=ROCm/rocFFT kind=compiled arch=gfx1201 opt=O3
	.text
	.amdgcn_target "amdgcn-amd-amdhsa--gfx1201"
	.amdhsa_code_object_version 6
	.protected	fft_rtc_fwd_len3600_factors_10_10_6_6_wgs_120_tpt_120_halfLds_sp_op_CI_CI_sbrr_dirReg ; -- Begin function fft_rtc_fwd_len3600_factors_10_10_6_6_wgs_120_tpt_120_halfLds_sp_op_CI_CI_sbrr_dirReg
	.globl	fft_rtc_fwd_len3600_factors_10_10_6_6_wgs_120_tpt_120_halfLds_sp_op_CI_CI_sbrr_dirReg
	.p2align	8
	.type	fft_rtc_fwd_len3600_factors_10_10_6_6_wgs_120_tpt_120_halfLds_sp_op_CI_CI_sbrr_dirReg,@function
fft_rtc_fwd_len3600_factors_10_10_6_6_wgs_120_tpt_120_halfLds_sp_op_CI_CI_sbrr_dirReg: ; @fft_rtc_fwd_len3600_factors_10_10_6_6_wgs_120_tpt_120_halfLds_sp_op_CI_CI_sbrr_dirReg
; %bb.0:
	s_clause 0x2
	s_load_b128 s[12:15], s[0:1], 0x18
	s_load_b128 s[8:11], s[0:1], 0x0
	;; [unrolled: 1-line block ×3, first 2 shown]
	v_mul_u32_u24_e32 v1, 0x223, v0
	v_mov_b32_e32 v5, 0
	v_mov_b32_e32 v27, 0
	;; [unrolled: 1-line block ×3, first 2 shown]
	s_wait_kmcnt 0x0
	s_load_b64 s[18:19], s[12:13], 0x0
	s_load_b64 s[16:17], s[14:15], 0x0
	v_lshrrev_b32_e32 v1, 16, v1
	v_cmp_lt_u64_e64 s2, s[10:11], 2
	s_delay_alu instid0(VALU_DEP_2) | instskip(NEXT) | instid1(VALU_DEP_2)
	v_dual_mov_b32 v8, v5 :: v_dual_add_nc_u32 v7, ttmp9, v1
	s_and_b32 vcc_lo, exec_lo, s2
	s_cbranch_vccnz .LBB0_8
; %bb.1:
	s_load_b64 s[2:3], s[0:1], 0x10
	v_mov_b32_e32 v27, 0
	v_mov_b32_e32 v28, 0
	s_delay_alu instid0(VALU_DEP_2)
	v_mov_b32_e32 v1, v27
	s_add_nc_u64 s[20:21], s[14:15], 8
	s_add_nc_u64 s[22:23], s[12:13], 8
	s_mov_b64 s[24:25], 1
	v_mov_b32_e32 v2, v28
	s_wait_kmcnt 0x0
	s_add_nc_u64 s[26:27], s[2:3], 8
	s_mov_b32 s3, 0
.LBB0_2:                                ; =>This Inner Loop Header: Depth=1
	s_load_b64 s[28:29], s[26:27], 0x0
                                        ; implicit-def: $vgpr3_vgpr4
	s_mov_b32 s2, exec_lo
	s_wait_kmcnt 0x0
	v_or_b32_e32 v6, s29, v8
	s_delay_alu instid0(VALU_DEP_1)
	v_cmpx_ne_u64_e32 0, v[5:6]
	s_wait_alu 0xfffe
	s_xor_b32 s30, exec_lo, s2
	s_cbranch_execz .LBB0_4
; %bb.3:                                ;   in Loop: Header=BB0_2 Depth=1
	s_cvt_f32_u32 s2, s28
	s_cvt_f32_u32 s31, s29
	s_sub_nc_u64 s[36:37], 0, s[28:29]
	s_wait_alu 0xfffe
	s_delay_alu instid0(SALU_CYCLE_1) | instskip(SKIP_1) | instid1(SALU_CYCLE_2)
	s_fmamk_f32 s2, s31, 0x4f800000, s2
	s_wait_alu 0xfffe
	v_s_rcp_f32 s2, s2
	s_delay_alu instid0(TRANS32_DEP_1) | instskip(SKIP_1) | instid1(SALU_CYCLE_2)
	s_mul_f32 s2, s2, 0x5f7ffffc
	s_wait_alu 0xfffe
	s_mul_f32 s31, s2, 0x2f800000
	s_wait_alu 0xfffe
	s_delay_alu instid0(SALU_CYCLE_2) | instskip(SKIP_1) | instid1(SALU_CYCLE_2)
	s_trunc_f32 s31, s31
	s_wait_alu 0xfffe
	s_fmamk_f32 s2, s31, 0xcf800000, s2
	s_cvt_u32_f32 s35, s31
	s_wait_alu 0xfffe
	s_delay_alu instid0(SALU_CYCLE_1) | instskip(SKIP_1) | instid1(SALU_CYCLE_2)
	s_cvt_u32_f32 s34, s2
	s_wait_alu 0xfffe
	s_mul_u64 s[38:39], s[36:37], s[34:35]
	s_wait_alu 0xfffe
	s_mul_hi_u32 s41, s34, s39
	s_mul_i32 s40, s34, s39
	s_mul_hi_u32 s2, s34, s38
	s_mul_i32 s33, s35, s38
	s_wait_alu 0xfffe
	s_add_nc_u64 s[40:41], s[2:3], s[40:41]
	s_mul_hi_u32 s31, s35, s38
	s_mul_hi_u32 s42, s35, s39
	s_add_co_u32 s2, s40, s33
	s_wait_alu 0xfffe
	s_add_co_ci_u32 s2, s41, s31
	s_mul_i32 s38, s35, s39
	s_add_co_ci_u32 s39, s42, 0
	s_wait_alu 0xfffe
	s_add_nc_u64 s[38:39], s[2:3], s[38:39]
	s_wait_alu 0xfffe
	v_add_co_u32 v3, s2, s34, s38
	s_delay_alu instid0(VALU_DEP_1) | instskip(SKIP_1) | instid1(VALU_DEP_1)
	s_cmp_lg_u32 s2, 0
	s_add_co_ci_u32 s35, s35, s39
	v_readfirstlane_b32 s34, v3
	s_wait_alu 0xfffe
	s_delay_alu instid0(VALU_DEP_1)
	s_mul_u64 s[36:37], s[36:37], s[34:35]
	s_wait_alu 0xfffe
	s_mul_hi_u32 s39, s34, s37
	s_mul_i32 s38, s34, s37
	s_mul_hi_u32 s2, s34, s36
	s_mul_i32 s33, s35, s36
	s_wait_alu 0xfffe
	s_add_nc_u64 s[38:39], s[2:3], s[38:39]
	s_mul_hi_u32 s31, s35, s36
	s_mul_hi_u32 s34, s35, s37
	s_wait_alu 0xfffe
	s_add_co_u32 s2, s38, s33
	s_add_co_ci_u32 s2, s39, s31
	s_mul_i32 s36, s35, s37
	s_add_co_ci_u32 s37, s34, 0
	s_wait_alu 0xfffe
	s_add_nc_u64 s[36:37], s[2:3], s[36:37]
	s_wait_alu 0xfffe
	v_add_co_u32 v6, s2, v3, s36
	s_delay_alu instid0(VALU_DEP_1) | instskip(SKIP_1) | instid1(VALU_DEP_1)
	s_cmp_lg_u32 s2, 0
	s_add_co_ci_u32 s2, s35, s37
	v_mul_hi_u32 v13, v7, v6
	s_wait_alu 0xfffe
	v_mad_co_u64_u32 v[3:4], null, v7, s2, 0
	v_mad_co_u64_u32 v[9:10], null, v8, v6, 0
	;; [unrolled: 1-line block ×3, first 2 shown]
	s_delay_alu instid0(VALU_DEP_3) | instskip(SKIP_1) | instid1(VALU_DEP_4)
	v_add_co_u32 v3, vcc_lo, v13, v3
	s_wait_alu 0xfffd
	v_add_co_ci_u32_e32 v4, vcc_lo, 0, v4, vcc_lo
	s_delay_alu instid0(VALU_DEP_2) | instskip(SKIP_1) | instid1(VALU_DEP_2)
	v_add_co_u32 v3, vcc_lo, v3, v9
	s_wait_alu 0xfffd
	v_add_co_ci_u32_e32 v3, vcc_lo, v4, v10, vcc_lo
	s_wait_alu 0xfffd
	v_add_co_ci_u32_e32 v4, vcc_lo, 0, v12, vcc_lo
	s_delay_alu instid0(VALU_DEP_2) | instskip(SKIP_1) | instid1(VALU_DEP_2)
	v_add_co_u32 v6, vcc_lo, v3, v11
	s_wait_alu 0xfffd
	v_add_co_ci_u32_e32 v9, vcc_lo, 0, v4, vcc_lo
	s_delay_alu instid0(VALU_DEP_2) | instskip(SKIP_1) | instid1(VALU_DEP_3)
	v_mul_lo_u32 v10, s29, v6
	v_mad_co_u64_u32 v[3:4], null, s28, v6, 0
	v_mul_lo_u32 v11, s28, v9
	s_delay_alu instid0(VALU_DEP_2) | instskip(NEXT) | instid1(VALU_DEP_2)
	v_sub_co_u32 v3, vcc_lo, v7, v3
	v_add3_u32 v4, v4, v11, v10
	s_delay_alu instid0(VALU_DEP_1) | instskip(SKIP_1) | instid1(VALU_DEP_1)
	v_sub_nc_u32_e32 v10, v8, v4
	s_wait_alu 0xfffd
	v_subrev_co_ci_u32_e64 v10, s2, s29, v10, vcc_lo
	v_add_co_u32 v11, s2, v6, 2
	s_wait_alu 0xf1ff
	v_add_co_ci_u32_e64 v12, s2, 0, v9, s2
	v_sub_co_u32 v13, s2, v3, s28
	v_sub_co_ci_u32_e32 v4, vcc_lo, v8, v4, vcc_lo
	s_wait_alu 0xf1ff
	v_subrev_co_ci_u32_e64 v10, s2, 0, v10, s2
	s_delay_alu instid0(VALU_DEP_3) | instskip(NEXT) | instid1(VALU_DEP_3)
	v_cmp_le_u32_e32 vcc_lo, s28, v13
	v_cmp_eq_u32_e64 s2, s29, v4
	s_wait_alu 0xfffd
	v_cndmask_b32_e64 v13, 0, -1, vcc_lo
	v_cmp_le_u32_e32 vcc_lo, s29, v10
	s_wait_alu 0xfffd
	v_cndmask_b32_e64 v14, 0, -1, vcc_lo
	v_cmp_le_u32_e32 vcc_lo, s28, v3
	;; [unrolled: 3-line block ×3, first 2 shown]
	s_wait_alu 0xfffd
	v_cndmask_b32_e64 v15, 0, -1, vcc_lo
	v_cmp_eq_u32_e32 vcc_lo, s29, v10
	s_wait_alu 0xf1ff
	s_delay_alu instid0(VALU_DEP_2)
	v_cndmask_b32_e64 v3, v15, v3, s2
	s_wait_alu 0xfffd
	v_cndmask_b32_e32 v10, v14, v13, vcc_lo
	v_add_co_u32 v13, vcc_lo, v6, 1
	s_wait_alu 0xfffd
	v_add_co_ci_u32_e32 v14, vcc_lo, 0, v9, vcc_lo
	s_delay_alu instid0(VALU_DEP_3) | instskip(SKIP_1) | instid1(VALU_DEP_2)
	v_cmp_ne_u32_e32 vcc_lo, 0, v10
	s_wait_alu 0xfffd
	v_cndmask_b32_e32 v4, v14, v12, vcc_lo
	v_cndmask_b32_e32 v10, v13, v11, vcc_lo
	v_cmp_ne_u32_e32 vcc_lo, 0, v3
	s_wait_alu 0xfffd
	s_delay_alu instid0(VALU_DEP_2)
	v_dual_cndmask_b32 v4, v9, v4 :: v_dual_cndmask_b32 v3, v6, v10
.LBB0_4:                                ;   in Loop: Header=BB0_2 Depth=1
	s_wait_alu 0xfffe
	s_and_not1_saveexec_b32 s2, s30
	s_cbranch_execz .LBB0_6
; %bb.5:                                ;   in Loop: Header=BB0_2 Depth=1
	v_cvt_f32_u32_e32 v3, s28
	s_sub_co_i32 s30, 0, s28
	s_delay_alu instid0(VALU_DEP_1) | instskip(NEXT) | instid1(TRANS32_DEP_1)
	v_rcp_iflag_f32_e32 v3, v3
	v_mul_f32_e32 v3, 0x4f7ffffe, v3
	s_delay_alu instid0(VALU_DEP_1) | instskip(SKIP_1) | instid1(VALU_DEP_1)
	v_cvt_u32_f32_e32 v3, v3
	s_wait_alu 0xfffe
	v_mul_lo_u32 v4, s30, v3
	s_delay_alu instid0(VALU_DEP_1) | instskip(NEXT) | instid1(VALU_DEP_1)
	v_mul_hi_u32 v4, v3, v4
	v_add_nc_u32_e32 v3, v3, v4
	s_delay_alu instid0(VALU_DEP_1) | instskip(NEXT) | instid1(VALU_DEP_1)
	v_mul_hi_u32 v3, v7, v3
	v_mul_lo_u32 v4, v3, s28
	v_add_nc_u32_e32 v6, 1, v3
	s_delay_alu instid0(VALU_DEP_2) | instskip(NEXT) | instid1(VALU_DEP_1)
	v_sub_nc_u32_e32 v4, v7, v4
	v_subrev_nc_u32_e32 v9, s28, v4
	v_cmp_le_u32_e32 vcc_lo, s28, v4
	s_wait_alu 0xfffd
	s_delay_alu instid0(VALU_DEP_2) | instskip(NEXT) | instid1(VALU_DEP_1)
	v_dual_cndmask_b32 v4, v4, v9 :: v_dual_cndmask_b32 v3, v3, v6
	v_cmp_le_u32_e32 vcc_lo, s28, v4
	v_mov_b32_e32 v4, v5
	s_delay_alu instid0(VALU_DEP_3) | instskip(SKIP_1) | instid1(VALU_DEP_1)
	v_add_nc_u32_e32 v6, 1, v3
	s_wait_alu 0xfffd
	v_cndmask_b32_e32 v3, v3, v6, vcc_lo
.LBB0_6:                                ;   in Loop: Header=BB0_2 Depth=1
	s_wait_alu 0xfffe
	s_or_b32 exec_lo, exec_lo, s2
	v_mul_lo_u32 v6, v4, s28
	s_delay_alu instid0(VALU_DEP_2)
	v_mul_lo_u32 v11, v3, s29
	s_load_b64 s[30:31], s[22:23], 0x0
	v_mad_co_u64_u32 v[9:10], null, v3, s28, 0
	s_load_b64 s[28:29], s[20:21], 0x0
	s_add_nc_u64 s[24:25], s[24:25], 1
	s_add_nc_u64 s[20:21], s[20:21], 8
	s_wait_alu 0xfffe
	v_cmp_ge_u64_e64 s2, s[24:25], s[10:11]
	s_add_nc_u64 s[22:23], s[22:23], 8
	s_add_nc_u64 s[26:27], s[26:27], 8
	v_add3_u32 v6, v10, v11, v6
	v_sub_co_u32 v7, vcc_lo, v7, v9
	s_wait_alu 0xfffd
	s_delay_alu instid0(VALU_DEP_2) | instskip(SKIP_2) | instid1(VALU_DEP_1)
	v_sub_co_ci_u32_e32 v6, vcc_lo, v8, v6, vcc_lo
	s_and_b32 vcc_lo, exec_lo, s2
	s_wait_kmcnt 0x0
	v_mul_lo_u32 v8, s30, v6
	v_mul_lo_u32 v9, s31, v7
	v_mad_co_u64_u32 v[27:28], null, s30, v7, v[27:28]
	v_mul_lo_u32 v6, s28, v6
	v_mul_lo_u32 v10, s29, v7
	v_mad_co_u64_u32 v[1:2], null, s28, v7, v[1:2]
	s_delay_alu instid0(VALU_DEP_4) | instskip(NEXT) | instid1(VALU_DEP_2)
	v_add3_u32 v28, v9, v28, v8
	v_add3_u32 v2, v10, v2, v6
	s_wait_alu 0xfffe
	s_cbranch_vccnz .LBB0_9
; %bb.7:                                ;   in Loop: Header=BB0_2 Depth=1
	v_dual_mov_b32 v8, v4 :: v_dual_mov_b32 v7, v3
	s_branch .LBB0_2
.LBB0_8:
	v_dual_mov_b32 v1, v27 :: v_dual_mov_b32 v2, v28
	s_delay_alu instid0(VALU_DEP_2)
	v_dual_mov_b32 v3, v7 :: v_dual_mov_b32 v4, v8
.LBB0_9:
	s_load_b64 s[0:1], s[0:1], 0x28
	v_mul_hi_u32 v5, 0x2222223, v0
	s_lshl_b64 s[10:11], s[10:11], 3
                                        ; implicit-def: $vgpr67
                                        ; implicit-def: $vgpr69
                                        ; implicit-def: $vgpr71
                                        ; implicit-def: $vgpr68
                                        ; implicit-def: $vgpr70
	s_wait_kmcnt 0x0
	v_cmp_gt_u64_e32 vcc_lo, s[0:1], v[3:4]
	v_cmp_le_u64_e64 s0, s[0:1], v[3:4]
	s_delay_alu instid0(VALU_DEP_1)
	s_and_saveexec_b32 s1, s0
	s_wait_alu 0xfffe
	s_xor_b32 s0, exec_lo, s1
; %bb.10:
	v_mul_u32_u24_e32 v5, 0x78, v5
                                        ; implicit-def: $vgpr27_vgpr28
	s_delay_alu instid0(VALU_DEP_1) | instskip(NEXT) | instid1(VALU_DEP_1)
	v_sub_nc_u32_e32 v67, v0, v5
                                        ; implicit-def: $vgpr5
                                        ; implicit-def: $vgpr0
	v_add_nc_u32_e32 v69, 0x78, v67
	v_add_nc_u32_e32 v71, 0xf0, v67
	;; [unrolled: 1-line block ×4, first 2 shown]
; %bb.11:
	s_wait_alu 0xfffe
	s_or_saveexec_b32 s1, s0
	s_add_nc_u64 s[2:3], s[14:15], s[10:11]
                                        ; implicit-def: $vgpr16
                                        ; implicit-def: $vgpr40
                                        ; implicit-def: $vgpr24
                                        ; implicit-def: $vgpr38
                                        ; implicit-def: $vgpr26
                                        ; implicit-def: $vgpr42
                                        ; implicit-def: $vgpr14
                                        ; implicit-def: $vgpr32
                                        ; implicit-def: $vgpr8
                                        ; implicit-def: $vgpr6
                                        ; implicit-def: $vgpr44
                                        ; implicit-def: $vgpr60
                                        ; implicit-def: $vgpr46
                                        ; implicit-def: $vgpr58
                                        ; implicit-def: $vgpr36
                                        ; implicit-def: $vgpr50
                                        ; implicit-def: $vgpr34
                                        ; implicit-def: $vgpr48
                                        ; implicit-def: $vgpr12
                                        ; implicit-def: $vgpr10
                                        ; implicit-def: $vgpr56
                                        ; implicit-def: $vgpr66
                                        ; implicit-def: $vgpr22
                                        ; implicit-def: $vgpr62
                                        ; implicit-def: $vgpr52
                                        ; implicit-def: $vgpr64
                                        ; implicit-def: $vgpr20
                                        ; implicit-def: $vgpr54
                                        ; implicit-def: $vgpr18
                                        ; implicit-def: $vgpr29
	s_wait_alu 0xfffe
	s_xor_b32 exec_lo, exec_lo, s1
	s_cbranch_execz .LBB0_13
; %bb.12:
	s_add_nc_u64 s[10:11], s[12:13], s[10:11]
	v_mul_u32_u24_e32 v5, 0x78, v5
	s_load_b64 s[10:11], s[10:11], 0x0
	v_lshlrev_b64_e32 v[15:16], 3, v[27:28]
	s_delay_alu instid0(VALU_DEP_2) | instskip(NEXT) | instid1(VALU_DEP_1)
	v_sub_nc_u32_e32 v67, v0, v5
	v_mad_co_u64_u32 v[5:6], null, s18, v67, 0
	v_add_nc_u32_e32 v68, 0x168, v67
	v_add_nc_u32_e32 v20, 0x2d0, v67
	;; [unrolled: 1-line block ×5, first 2 shown]
	v_mad_co_u64_u32 v[7:8], null, s18, v68, 0
	v_mov_b32_e32 v0, v6
	v_mad_co_u64_u32 v[9:10], null, s18, v20, 0
	s_wait_kmcnt 0x0
	v_mul_lo_u32 v6, s11, v3
	v_mul_lo_u32 v19, s10, v4
	v_mad_co_u64_u32 v[13:14], null, s10, v3, 0
	v_mad_co_u64_u32 v[11:12], null, s18, v21, 0
	;; [unrolled: 1-line block ×3, first 2 shown]
	v_dual_mov_b32 v0, v8 :: v_dual_add_nc_u32 v23, 0x5a0, v67
	s_delay_alu instid0(VALU_DEP_4) | instskip(SKIP_2) | instid1(VALU_DEP_4)
	v_add3_u32 v14, v14, v19, v6
	v_dual_mov_b32 v8, v10 :: v_dual_add_nc_u32 v27, 0x870, v67
	v_mov_b32_e32 v10, v12
	v_mad_co_u64_u32 v[18:19], null, s19, v68, v[0:1]
	s_delay_alu instid0(VALU_DEP_4) | instskip(NEXT) | instid1(VALU_DEP_4)
	v_lshlrev_b64_e32 v[12:13], 3, v[13:14]
	v_mad_co_u64_u32 v[19:20], null, s19, v20, v[8:9]
	v_mov_b32_e32 v6, v17
	v_mad_co_u64_u32 v[20:21], null, s19, v21, v[10:11]
	s_delay_alu instid0(VALU_DEP_4)
	v_add_co_u32 v0, s0, s4, v12
	v_dual_mov_b32 v8, v18 :: v_dual_add_nc_u32 v69, 0x78, v67
	s_wait_alu 0xf1ff
	v_add_co_ci_u32_e64 v12, s0, s5, v13, s0
	v_lshlrev_b64_e32 v[5:6], 3, v[5:6]
	v_add_nc_u32_e32 v18, 0x708, v67
	v_mov_b32_e32 v10, v19
	v_add_co_u32 v0, s0, v0, v15
	v_mad_co_u64_u32 v[13:14], null, s18, v23, 0
	s_wait_alu 0xf1ff
	v_add_co_ci_u32_e64 v15, s0, v12, v16, s0
	v_lshlrev_b64_e32 v[7:8], 3, v[7:8]
	v_mad_co_u64_u32 v[33:34], null, s18, v70, 0
	v_mov_b32_e32 v12, v20
	v_mad_co_u64_u32 v[21:22], null, s18, v18, 0
	v_add_co_u32 v5, s0, v0, v5
	v_lshlrev_b64_e32 v[9:10], 3, v[9:10]
	s_wait_alu 0xf1ff
	v_add_co_ci_u32_e64 v6, s0, v15, v6, s0
	v_add_co_u32 v7, s0, v0, v7
	v_lshlrev_b64_e32 v[11:12], 3, v[11:12]
	v_mad_co_u64_u32 v[16:17], null, s19, v23, v[14:15]
	s_wait_alu 0xf1ff
	v_add_co_ci_u32_e64 v8, s0, v15, v8, s0
	v_add_co_u32 v9, s0, v0, v9
	v_mov_b32_e32 v17, v22
	s_wait_alu 0xf1ff
	v_add_co_ci_u32_e64 v10, s0, v15, v10, s0
	v_add_co_u32 v11, s0, v0, v11
	s_wait_alu 0xf1ff
	v_add_co_ci_u32_e64 v12, s0, v15, v12, s0
	v_mov_b32_e32 v14, v16
	v_mad_co_u64_u32 v[16:17], null, s19, v18, v[17:18]
	s_clause 0x3
	global_load_b64 v[28:29], v[5:6], off
	global_load_b64 v[17:18], v[7:8], off
	;; [unrolled: 1-line block ×4, first 2 shown]
	v_mad_co_u64_u32 v[23:24], null, s18, v27, 0
	v_mad_co_u64_u32 v[25:26], null, s18, v30, 0
	v_lshlrev_b64_e32 v[5:6], 3, v[13:14]
	v_add_nc_u32_e32 v74, 0x960, v67
	v_add_nc_u32_e32 v76, 0xd98, v67
	v_dual_mov_b32 v22, v24 :: v_dual_add_nc_u32 v71, 0xf0, v67
	v_add_nc_u32_e32 v75, 0xac8, v67
	v_add_co_u32 v5, s0, v0, v5
	s_wait_alu 0xf1ff
	v_add_co_ci_u32_e64 v6, s0, v15, v6, s0
	v_mad_co_u64_u32 v[7:8], null, s19, v27, v[22:23]
	v_mov_b32_e32 v22, v16
	v_dual_mov_b32 v8, v26 :: v_dual_add_nc_u32 v27, 0xca8, v67
	v_mad_co_u64_u32 v[41:42], null, s18, v74, 0
	s_delay_alu instid0(VALU_DEP_3) | instskip(SKIP_2) | instid1(VALU_DEP_3)
	v_lshlrev_b64_e32 v[9:10], 3, v[21:22]
	v_dual_mov_b32 v24, v7 :: v_dual_add_nc_u32 v21, 0xb40, v67
	v_mad_co_u64_u32 v[72:73], null, s18, v75, 0
	v_mad_co_u64_u32 v[7:8], null, s19, v30, v[8:9]
	v_add_co_u32 v8, s0, v0, v9
	s_wait_alu 0xf1ff
	v_add_co_ci_u32_e64 v9, s0, v15, v10, s0
	v_lshlrev_b64_e32 v[10:11], 3, v[23:24]
	v_mad_co_u64_u32 v[23:24], null, s18, v27, 0
	v_mad_co_u64_u32 v[12:13], null, s18, v21, 0
	v_mov_b32_e32 v26, v7
	s_delay_alu instid0(VALU_DEP_4) | instskip(SKIP_2) | instid1(VALU_DEP_4)
	v_add_co_u32 v10, s0, v0, v10
	s_wait_alu 0xf1ff
	v_add_co_ci_u32_e64 v11, s0, v15, v11, s0
	v_dual_mov_b32 v16, v24 :: v_dual_mov_b32 v7, v13
	v_lshlrev_b64_e32 v[13:14], 3, v[25:26]
	v_mad_co_u64_u32 v[25:26], null, s18, v69, 0
	s_delay_alu instid0(VALU_DEP_3) | instskip(NEXT) | instid1(VALU_DEP_2)
	v_mad_co_u64_u32 v[21:22], null, s19, v21, v[7:8]
	v_mov_b32_e32 v7, v26
	s_wait_loadcnt 0x2
	v_mad_co_u64_u32 v[30:31], null, s19, v27, v[16:17]
	v_add_co_u32 v31, s0, v0, v13
	s_delay_alu instid0(VALU_DEP_4)
	v_mov_b32_e32 v13, v21
	s_wait_alu 0xf1ff
	v_add_co_ci_u32_e64 v32, s0, v15, v14, s0
	v_mad_co_u64_u32 v[26:27], null, s19, v69, v[7:8]
	v_mov_b32_e32 v24, v30
	s_clause 0x3
	global_load_b64 v[63:64], v[5:6], off
	global_load_b64 v[51:52], v[8:9], off
	;; [unrolled: 1-line block ×4, first 2 shown]
	v_mov_b32_e32 v7, v34
	v_lshlrev_b64_e32 v[5:6], 3, v[12:13]
	v_add_nc_u32_e32 v16, 0x348, v67
	v_lshlrev_b64_e32 v[8:9], 3, v[23:24]
	s_delay_alu instid0(VALU_DEP_2) | instskip(NEXT) | instid1(VALU_DEP_2)
	v_mad_co_u64_u32 v[13:14], null, s18, v16, 0
	v_mad_co_u64_u32 v[10:11], null, s19, v70, v[7:8]
	v_add_co_u32 v5, s0, v0, v5
	v_lshlrev_b64_e32 v[11:12], 3, v[25:26]
	s_wait_alu 0xf1ff
	v_add_co_ci_u32_e64 v6, s0, v15, v6, s0
	v_add_co_u32 v7, s0, v0, v8
	s_wait_alu 0xf1ff
	v_add_co_ci_u32_e64 v8, s0, v15, v9, s0
	v_mov_b32_e32 v34, v10
	v_add_co_u32 v10, s0, v0, v11
	v_mov_b32_e32 v9, v14
	s_wait_alu 0xf1ff
	v_add_co_ci_u32_e64 v11, s0, v15, v12, s0
	v_add_nc_u32_e32 v12, 0x4b0, v67
	v_lshlrev_b64_e32 v[23:24], 3, v[33:34]
	v_mad_co_u64_u32 v[25:26], null, s19, v16, v[9:10]
	v_add_nc_u32_e32 v16, 0x618, v67
	s_delay_alu instid0(VALU_DEP_4) | instskip(NEXT) | instid1(VALU_DEP_4)
	v_mad_co_u64_u32 v[26:27], null, s18, v12, 0
	v_add_co_u32 v23, s0, v0, v23
	s_wait_alu 0xf1ff
	v_add_co_ci_u32_e64 v24, s0, v15, v24, s0
	v_mov_b32_e32 v14, v25
	v_or_b32_e32 v25, 0x780, v67
	v_mov_b32_e32 v9, v27
	v_mad_co_u64_u32 v[30:31], null, s18, v16, 0
	s_delay_alu instid0(VALU_DEP_3) | instskip(NEXT) | instid1(VALU_DEP_3)
	v_mad_co_u64_u32 v[32:33], null, s18, v25, 0
	v_mad_co_u64_u32 v[34:35], null, s19, v12, v[9:10]
	s_clause 0x3
	global_load_b64 v[65:66], v[5:6], off
	global_load_b64 v[55:56], v[7:8], off
	global_load_b64 v[9:10], v[10:11], off
	global_load_b64 v[11:12], v[23:24], off
	v_lshlrev_b64_e32 v[6:7], 3, v[13:14]
	v_mov_b32_e32 v5, v31
	v_dual_mov_b32 v8, v33 :: v_dual_add_nc_u32 v35, 0xbb8, v67
	v_mov_b32_e32 v27, v34
	s_delay_alu instid0(VALU_DEP_3)
	v_mad_co_u64_u32 v[13:14], null, s19, v16, v[5:6]
	v_add_nc_u32_e32 v16, 0x8e8, v67
	v_add_nc_u32_e32 v34, 0xa50, v67
	v_mad_co_u64_u32 v[37:38], null, s18, v35, 0
	v_add_co_u32 v5, s0, v0, v6
	v_mov_b32_e32 v31, v13
	v_mad_co_u64_u32 v[13:14], null, s18, v16, 0
	s_wait_alu 0xf1ff
	v_add_co_ci_u32_e64 v6, s0, v15, v7, s0
	s_wait_loadcnt 0x1
	v_mad_co_u64_u32 v[23:24], null, s19, v25, v[8:9]
	v_lshlrev_b64_e32 v[7:8], 3, v[26:27]
	v_mov_b32_e32 v27, v38
	s_delay_alu instid0(VALU_DEP_3) | instskip(SKIP_3) | instid1(VALU_DEP_4)
	v_mov_b32_e32 v33, v23
	v_lshlrev_b64_e32 v[23:24], 3, v[30:31]
	v_mad_co_u64_u32 v[30:31], null, s18, v34, 0
	v_add_co_u32 v7, s0, v0, v7
	v_lshlrev_b64_e32 v[25:26], 3, v[32:33]
	v_mad_co_u64_u32 v[32:33], null, s19, v16, v[14:15]
	s_wait_alu 0xf1ff
	v_add_co_ci_u32_e64 v8, s0, v15, v8, s0
	v_mov_b32_e32 v16, v31
	v_add_co_u32 v23, s0, v0, v23
	s_wait_alu 0xf1ff
	v_add_co_ci_u32_e64 v24, s0, v15, v24, s0
	v_mov_b32_e32 v14, v32
	v_mad_co_u64_u32 v[31:32], null, s19, v34, v[16:17]
	v_mad_co_u64_u32 v[32:33], null, s19, v35, v[27:28]
	v_add_nc_u32_e32 v16, 0xd20, v67
	v_add_co_u32 v25, s0, v0, v25
	s_wait_alu 0xf1ff
	v_add_co_ci_u32_e64 v26, s0, v15, v26, s0
	s_clause 0x3
	global_load_b64 v[47:48], v[5:6], off
	global_load_b64 v[33:34], v[7:8], off
	;; [unrolled: 1-line block ×4, first 2 shown]
	v_mov_b32_e32 v38, v32
	v_mad_co_u64_u32 v[7:8], null, s18, v16, 0
	v_lshlrev_b64_e32 v[5:6], 3, v[13:14]
	v_lshlrev_b64_e32 v[13:14], 3, v[30:31]
	s_delay_alu instid0(VALU_DEP_4) | instskip(SKIP_3) | instid1(VALU_DEP_3)
	v_lshlrev_b64_e32 v[23:24], 3, v[37:38]
	v_add_nc_u32_e32 v37, 0x258, v67
	v_mad_co_u64_u32 v[25:26], null, s19, v16, v[8:9]
	v_mad_co_u64_u32 v[26:27], null, s18, v71, 0
	;; [unrolled: 1-line block ×3, first 2 shown]
	v_add_co_u32 v5, s0, v0, v5
	s_delay_alu instid0(VALU_DEP_4) | instskip(SKIP_2) | instid1(VALU_DEP_4)
	v_mov_b32_e32 v8, v25
	s_wait_alu 0xf1ff
	v_add_co_ci_u32_e64 v6, s0, v15, v6, s0
	v_dual_mov_b32 v16, v27 :: v_dual_mov_b32 v25, v31
	v_add_co_u32 v13, s0, v0, v13
	v_lshlrev_b64_e32 v[7:8], 3, v[7:8]
	s_delay_alu instid0(VALU_DEP_3) | instskip(NEXT) | instid1(VALU_DEP_4)
	v_mad_co_u64_u32 v[31:32], null, s19, v71, v[16:17]
	v_mad_co_u64_u32 v[37:38], null, s19, v37, v[25:26]
	v_add_nc_u32_e32 v16, 0x3c0, v67
	v_add_nc_u32_e32 v25, 0x528, v67
	s_wait_alu 0xf1ff
	v_add_co_ci_u32_e64 v14, s0, v15, v14, s0
	v_mov_b32_e32 v27, v31
	v_add_co_u32 v23, s0, v0, v23
	v_mov_b32_e32 v31, v37
	v_mad_co_u64_u32 v[37:38], null, s18, v16, 0
	v_mad_co_u64_u32 v[39:40], null, s18, v25, 0
	s_wait_alu 0xf1ff
	v_add_co_ci_u32_e64 v24, s0, v15, v24, s0
	v_add_co_u32 v7, s0, v0, v7
	s_wait_alu 0xf1ff
	v_add_co_ci_u32_e64 v8, s0, v15, v8, s0
	s_clause 0x3
	global_load_b64 v[57:58], v[5:6], off
	global_load_b64 v[45:46], v[13:14], off
	;; [unrolled: 1-line block ×4, first 2 shown]
	v_dual_mov_b32 v7, v38 :: v_dual_mov_b32 v8, v40
	v_lshlrev_b64_e32 v[5:6], 3, v[26:27]
	v_add_nc_u32_e32 v27, 0x690, v67
	v_lshlrev_b64_e32 v[13:14], 3, v[30:31]
	s_delay_alu instid0(VALU_DEP_4) | instskip(SKIP_1) | instid1(VALU_DEP_4)
	v_mad_co_u64_u32 v[23:24], null, s19, v16, v[7:8]
	v_mad_co_u64_u32 v[7:8], null, s19, v25, v[8:9]
	;; [unrolled: 1-line block ×3, first 2 shown]
	v_add_co_u32 v5, s0, v0, v5
	s_wait_alu 0xf1ff
	v_add_co_ci_u32_e64 v6, s0, v15, v6, s0
	v_mov_b32_e32 v38, v23
	v_mov_b32_e32 v40, v7
	v_add_co_u32 v7, s0, v0, v13
	v_dual_mov_b32 v13, v25 :: v_dual_add_nc_u32 v16, 0x7f8, v67
	s_wait_alu 0xf1ff
	v_add_co_ci_u32_e64 v8, s0, v15, v14, s0
	v_lshlrev_b64_e32 v[25:26], 3, v[37:38]
	s_delay_alu instid0(VALU_DEP_3) | instskip(SKIP_2) | instid1(VALU_DEP_4)
	v_mad_co_u64_u32 v[13:14], null, s19, v27, v[13:14]
	v_mad_co_u64_u32 v[37:38], null, s18, v16, 0
	v_lshlrev_b64_e32 v[30:31], 3, v[39:40]
	v_add_co_u32 v39, s0, v0, v25
	s_wait_alu 0xf1ff
	v_add_co_ci_u32_e64 v40, s0, v15, v26, s0
	v_mov_b32_e32 v25, v13
	v_mov_b32_e32 v13, v38
	v_add_co_u32 v26, s0, v0, v30
	s_wait_alu 0xf1ff
	v_add_co_ci_u32_e64 v27, s0, v15, v31, s0
	s_delay_alu instid0(VALU_DEP_3)
	v_mad_co_u64_u32 v[30:31], null, s19, v16, v[13:14]
	v_mov_b32_e32 v16, v42
	s_clause 0x3
	global_load_b64 v[5:6], v[5:6], off
	global_load_b64 v[7:8], v[7:8], off
	;; [unrolled: 1-line block ×4, first 2 shown]
	v_lshlrev_b64_e32 v[23:24], 3, v[24:25]
	v_mad_co_u64_u32 v[25:26], null, s19, v74, v[16:17]
	v_mov_b32_e32 v38, v30
	v_add_nc_u32_e32 v30, 0xc30, v67
	v_mov_b32_e32 v16, v73
	v_add_co_u32 v23, s0, v0, v23
	s_delay_alu instid0(VALU_DEP_4) | instskip(NEXT) | instid1(VALU_DEP_4)
	v_lshlrev_b64_e32 v[37:38], 3, v[37:38]
	v_mad_co_u64_u32 v[26:27], null, s18, v30, 0
	s_delay_alu instid0(VALU_DEP_4) | instskip(SKIP_4) | instid1(VALU_DEP_4)
	v_mad_co_u64_u32 v[39:40], null, s19, v75, v[16:17]
	v_mad_co_u64_u32 v[74:75], null, s18, v76, 0
	v_mov_b32_e32 v42, v25
	s_wait_alu 0xf1ff
	v_add_co_ci_u32_e64 v24, s0, v15, v24, s0
	v_dual_mov_b32 v16, v27 :: v_dual_mov_b32 v73, v39
	v_add_co_u32 v37, s0, v0, v37
	s_wait_alu 0xf1ff
	v_add_co_ci_u32_e64 v38, s0, v15, v38, s0
	s_delay_alu instid0(VALU_DEP_3) | instskip(SKIP_3) | instid1(VALU_DEP_3)
	v_mad_co_u64_u32 v[39:40], null, s19, v30, v[16:17]
	v_mov_b32_e32 v16, v75
	v_lshlrev_b64_e32 v[40:41], 3, v[41:42]
	v_lshlrev_b64_e32 v[72:73], 3, v[72:73]
	v_mad_co_u64_u32 v[75:76], null, s19, v76, v[16:17]
	v_mov_b32_e32 v27, v39
	s_delay_alu instid0(VALU_DEP_4) | instskip(SKIP_2) | instid1(VALU_DEP_3)
	v_add_co_u32 v39, s0, v0, v40
	s_wait_alu 0xf1ff
	v_add_co_ci_u32_e64 v40, s0, v15, v41, s0
	v_lshlrev_b64_e32 v[25:26], 3, v[26:27]
	v_add_co_u32 v72, s0, v0, v72
	v_lshlrev_b64_e32 v[41:42], 3, v[74:75]
	s_wait_alu 0xf1ff
	v_add_co_ci_u32_e64 v73, s0, v15, v73, s0
	s_delay_alu instid0(VALU_DEP_4)
	v_add_co_u32 v74, s0, v0, v25
	s_wait_alu 0xf1ff
	v_add_co_ci_u32_e64 v75, s0, v15, v26, s0
	v_add_co_u32 v76, s0, v0, v41
	s_wait_alu 0xf1ff
	v_add_co_ci_u32_e64 v77, s0, v15, v42, s0
	s_clause 0x5
	global_load_b64 v[41:42], v[23:24], off
	global_load_b64 v[25:26], v[37:38], off
	;; [unrolled: 1-line block ×6, first 2 shown]
.LBB0_13:
	s_or_b32 exec_lo, exec_lo, s1
	v_dual_add_f32 v0, v61, v63 :: v_dual_sub_f32 v77, v63, v53
	v_dual_add_f32 v27, v53, v28 :: v_dual_sub_f32 v30, v54, v66
	v_dual_sub_f32 v72, v64, v62 :: v_dual_sub_f32 v73, v53, v63
	s_delay_alu instid0(VALU_DEP_3) | instskip(NEXT) | instid1(VALU_DEP_3)
	v_fma_f32 v0, -0.5, v0, v28
	v_dual_sub_f32 v74, v65, v61 :: v_dual_add_f32 v27, v63, v27
	v_add_f32_e32 v75, v65, v53
	s_load_b64 s[2:3], s[2:3], 0x0
	s_delay_alu instid0(VALU_DEP_3) | instskip(NEXT) | instid1(VALU_DEP_3)
	v_fmamk_f32 v76, v30, 0x3f737871, v0
	v_add_f32_e32 v73, v74, v73
	v_add_f32_e32 v27, v61, v27
	v_fmac_f32_e32 v28, -0.5, v75
	v_sub_f32_e32 v74, v61, v65
	v_fmac_f32_e32 v76, 0x3f167918, v72
	s_delay_alu instid0(VALU_DEP_4) | instskip(NEXT) | instid1(VALU_DEP_4)
	v_dual_fmac_f32 v0, 0xbf737871, v30 :: v_dual_add_f32 v27, v65, v27
	v_dual_fmamk_f32 v75, v72, 0xbf737871, v28 :: v_dual_add_f32 v78, v54, v29
	s_delay_alu instid0(VALU_DEP_3) | instskip(NEXT) | instid1(VALU_DEP_3)
	v_dual_fmac_f32 v76, 0x3e9e377a, v73 :: v_dual_add_f32 v79, v62, v64
	v_dual_fmac_f32 v0, 0xbf167918, v72 :: v_dual_sub_f32 v53, v53, v65
	s_delay_alu instid0(VALU_DEP_3) | instskip(SKIP_3) | instid1(VALU_DEP_3)
	v_dual_fmac_f32 v75, 0x3f167918, v30 :: v_dual_add_f32 v74, v74, v77
	v_dual_fmac_f32 v28, 0x3f737871, v72 :: v_dual_sub_f32 v61, v63, v61
	v_dual_add_f32 v72, v64, v78 :: v_dual_sub_f32 v63, v54, v64
	v_fma_f32 v77, -0.5, v79, v29
	v_fmac_f32_e32 v28, 0xbf167918, v30
	v_cmp_gt_u32_e64 s0, 0x64, v67
	s_delay_alu instid0(VALU_DEP_3) | instskip(SKIP_3) | instid1(VALU_DEP_4)
	v_fmamk_f32 v65, v53, 0xbf737871, v77
	v_dual_fmac_f32 v0, 0x3e9e377a, v73 :: v_dual_fmac_f32 v75, 0x3e9e377a, v74
	v_add_f32_e32 v30, v62, v72
	v_sub_f32_e32 v73, v66, v62
	v_dual_add_f32 v72, v66, v54 :: v_dual_fmac_f32 v65, 0xbf167918, v61
	s_delay_alu instid0(VALU_DEP_3) | instskip(NEXT) | instid1(VALU_DEP_3)
	v_dual_fmac_f32 v77, 0x3f737871, v53 :: v_dual_add_f32 v30, v66, v30
	v_add_f32_e32 v63, v73, v63
	s_delay_alu instid0(VALU_DEP_3) | instskip(NEXT) | instid1(VALU_DEP_3)
	v_dual_fmac_f32 v29, -0.5, v72 :: v_dual_sub_f32 v54, v64, v54
	v_dual_fmac_f32 v77, 0x3f167918, v61 :: v_dual_sub_f32 v62, v62, v66
	v_add_f32_e32 v64, v21, v51
	s_delay_alu instid0(VALU_DEP_3) | instskip(SKIP_1) | instid1(VALU_DEP_4)
	v_fmamk_f32 v72, v61, 0x3f737871, v29
	v_fmac_f32_e32 v29, 0xbf737871, v61
	v_dual_add_f32 v61, v19, v17 :: v_dual_add_f32 v54, v62, v54
	v_fmac_f32_e32 v77, 0x3e9e377a, v63
	s_delay_alu instid0(VALU_DEP_4) | instskip(SKIP_4) | instid1(VALU_DEP_3)
	v_fmac_f32_e32 v72, 0xbf167918, v53
	v_fma_f32 v62, -0.5, v64, v17
	v_dual_sub_f32 v64, v20, v56 :: v_dual_fmac_f32 v29, 0x3f167918, v53
	v_dual_fmac_f32 v28, 0x3e9e377a, v74 :: v_dual_fmac_f32 v65, 0x3e9e377a, v63
	v_add_f32_e32 v53, v51, v61
	v_dual_fmamk_f32 v61, v64, 0x3f737871, v62 :: v_dual_sub_f32 v66, v19, v51
	v_sub_f32_e32 v63, v52, v22
	v_dual_fmac_f32 v72, 0x3e9e377a, v54 :: v_dual_sub_f32 v73, v55, v21
	v_fmac_f32_e32 v62, 0xbf737871, v64
	v_dual_add_f32 v74, v55, v19 :: v_dual_add_f32 v53, v21, v53
	s_delay_alu instid0(VALU_DEP_3) | instskip(NEXT) | instid1(VALU_DEP_2)
	v_dual_fmac_f32 v61, 0x3f167918, v63 :: v_dual_add_f32 v66, v73, v66
	v_dual_fmac_f32 v62, 0xbf167918, v63 :: v_dual_fmac_f32 v17, -0.5, v74
	v_dual_fmac_f32 v29, 0x3e9e377a, v54 :: v_dual_sub_f32 v54, v51, v19
	s_delay_alu instid0(VALU_DEP_2) | instskip(NEXT) | instid1(VALU_DEP_4)
	v_dual_add_f32 v73, v55, v53 :: v_dual_fmac_f32 v62, 0x3e9e377a, v66
	v_dual_fmac_f32 v61, 0x3e9e377a, v66 :: v_dual_sub_f32 v74, v21, v55
	s_delay_alu instid0(VALU_DEP_4) | instskip(SKIP_2) | instid1(VALU_DEP_3)
	v_dual_fmamk_f32 v66, v63, 0xbf737871, v17 :: v_dual_add_f32 v53, v22, v52
	v_fmac_f32_e32 v17, 0x3f737871, v63
	v_sub_f32_e32 v19, v19, v55
	v_dual_sub_f32 v21, v51, v21 :: v_dual_fmac_f32 v66, 0x3f167918, v64
	s_delay_alu instid0(VALU_DEP_4) | instskip(SKIP_3) | instid1(VALU_DEP_4)
	v_fma_f32 v63, -0.5, v53, v18
	v_add_f32_e32 v53, v74, v54
	v_add_f32_e32 v55, v56, v20
	v_dual_add_f32 v54, v20, v18 :: v_dual_fmac_f32 v17, 0xbf167918, v64
	v_fmamk_f32 v64, v19, 0xbf737871, v63
	s_delay_alu instid0(VALU_DEP_4) | instskip(NEXT) | instid1(VALU_DEP_3)
	v_fmac_f32_e32 v66, 0x3e9e377a, v53
	v_dual_fmac_f32 v18, -0.5, v55 :: v_dual_add_f32 v51, v52, v54
	s_delay_alu instid0(VALU_DEP_4) | instskip(NEXT) | instid1(VALU_DEP_2)
	v_dual_fmac_f32 v17, 0x3e9e377a, v53 :: v_dual_sub_f32 v54, v56, v22
	v_dual_sub_f32 v53, v20, v52 :: v_dual_fmamk_f32 v74, v21, 0x3f737871, v18
	v_sub_f32_e32 v20, v52, v20
	v_dual_sub_f32 v52, v22, v56 :: v_dual_fmac_f32 v63, 0x3f737871, v19
	s_delay_alu instid0(VALU_DEP_3) | instskip(SKIP_1) | instid1(VALU_DEP_3)
	v_dual_add_f32 v53, v54, v53 :: v_dual_fmac_f32 v74, 0xbf167918, v19
	v_fmac_f32_e32 v64, 0xbf167918, v21
	v_dual_add_f32 v20, v52, v20 :: v_dual_fmac_f32 v63, 0x3f167918, v21
	v_fmac_f32_e32 v18, 0xbf737871, v21
	v_mul_f32_e32 v78, 0x3e9e377a, v66
	s_delay_alu instid0(VALU_DEP_3) | instskip(NEXT) | instid1(VALU_DEP_1)
	v_dual_fmac_f32 v74, 0x3e9e377a, v20 :: v_dual_fmac_f32 v63, 0x3e9e377a, v53
	v_fmac_f32_e32 v78, 0x3f737871, v74
	s_delay_alu instid0(VALU_DEP_4) | instskip(SKIP_2) | instid1(VALU_DEP_2)
	v_fmac_f32_e32 v18, 0x3f167918, v19
	v_dual_add_f32 v19, v22, v51 :: v_dual_fmac_f32 v64, 0x3e9e377a, v53
	v_dual_mul_f32 v22, 0x3f4f1bbd, v61 :: v_dual_add_f32 v51, v73, v27
	v_add_f32_e32 v79, v56, v19
	v_mul_f32_e32 v19, 0x3f4f1bbd, v62
	s_delay_alu instid0(VALU_DEP_1) | instskip(SKIP_1) | instid1(VALU_DEP_2)
	v_fma_f32 v81, 0x3f167918, v63, -v19
	v_mul_f32_e32 v19, 0x3f4f1bbd, v63
	v_add_f32_e32 v55, v0, v81
	s_delay_alu instid0(VALU_DEP_2) | instskip(NEXT) | instid1(VALU_DEP_1)
	v_fma_f32 v83, 0xbf167918, v62, -v19
	v_add_f32_e32 v21, v77, v83
	v_dual_add_f32 v53, v75, v78 :: v_dual_fmac_f32 v18, 0x3e9e377a, v20
	v_mul_f32_e32 v20, 0x3e9e377a, v17
	s_wait_loadcnt 0xb
	v_dual_sub_f32 v62, v75, v78 :: v_dual_sub_f32 v75, v48, v60
	s_delay_alu instid0(VALU_DEP_2) | instskip(SKIP_1) | instid1(VALU_DEP_2)
	v_fma_f32 v80, 0x3f737871, v18, -v20
	v_mul_f32_e32 v66, 0xbf737871, v66
	v_dual_mul_f32 v18, 0x3e9e377a, v18 :: v_dual_sub_f32 v63, v28, v80
	s_delay_alu instid0(VALU_DEP_2) | instskip(SKIP_1) | instid1(VALU_DEP_3)
	v_fmac_f32_e32 v66, 0x3e9e377a, v74
	v_fmac_f32_e32 v22, 0x3f167918, v64
	v_fma_f32 v74, 0xbf737871, v17, -v18
	v_sub_f32_e32 v56, v27, v73
	v_add_f32_e32 v17, v79, v30
	v_add_f32_e32 v19, v72, v66
	;; [unrolled: 1-line block ×3, first 2 shown]
	v_dual_mul_f32 v82, 0xbf167918, v61 :: v_dual_sub_f32 v61, v76, v22
	v_add_f32_e32 v22, v57, v49
	v_add_f32_e32 v76, v59, v47
	s_delay_alu instid0(VALU_DEP_3) | instskip(SKIP_1) | instid1(VALU_DEP_4)
	v_fmac_f32_e32 v82, 0x3f4f1bbd, v64
	v_add_f32_e32 v54, v28, v80
	v_fma_f32 v73, -0.5, v22, v9
	s_delay_alu instid0(VALU_DEP_3) | instskip(NEXT) | instid1(VALU_DEP_2)
	v_sub_f32_e32 v27, v65, v82
	v_dual_add_f32 v18, v65, v82 :: v_dual_fmamk_f32 v65, v75, 0x3f737871, v73
	v_dual_fmac_f32 v73, 0xbf737871, v75 :: v_dual_sub_f32 v64, v0, v81
	v_dual_add_f32 v0, v47, v9 :: v_dual_fmac_f32 v9, -0.5, v76
	v_sub_f32_e32 v28, v72, v66
	v_sub_f32_e32 v66, v50, v58
	;; [unrolled: 1-line block ×4, first 2 shown]
	v_dual_sub_f32 v72, v59, v57 :: v_dual_add_f32 v79, v58, v50
	s_delay_alu instid0(VALU_DEP_4) | instskip(NEXT) | instid1(VALU_DEP_2)
	v_dual_fmac_f32 v73, 0xbf167918, v66 :: v_dual_sub_f32 v76, v49, v47
	v_dual_sub_f32 v47, v47, v59 :: v_dual_add_f32 v72, v72, v30
	s_delay_alu instid0(VALU_DEP_1)
	v_fmac_f32_e32 v73, 0x3e9e377a, v72
	v_fmac_f32_e32 v65, 0x3f167918, v66
	v_add_f32_e32 v20, v29, v74
	v_dual_sub_f32 v29, v29, v74 :: v_dual_fmamk_f32 v74, v66, 0xbf737871, v9
	v_dual_fmac_f32 v9, 0x3f737871, v66 :: v_dual_add_f32 v0, v49, v0
	v_dual_sub_f32 v49, v49, v57 :: v_dual_add_f32 v78, v48, v10
	s_delay_alu instid0(VALU_DEP_3) | instskip(NEXT) | instid1(VALU_DEP_3)
	v_fmac_f32_e32 v74, 0x3f167918, v75
	v_dual_fmac_f32 v9, 0xbf167918, v75 :: v_dual_add_f32 v0, v57, v0
	v_dual_sub_f32 v75, v60, v58 :: v_dual_sub_f32 v30, v77, v83
	v_sub_f32_e32 v77, v57, v59
	s_delay_alu instid0(VALU_DEP_1) | instskip(NEXT) | instid1(VALU_DEP_1)
	v_dual_sub_f32 v57, v48, v50 :: v_dual_add_f32 v76, v77, v76
	v_dual_add_f32 v57, v75, v57 :: v_dual_add_f32 v66, v50, v78
	v_fma_f32 v77, -0.5, v79, v10
	s_delay_alu instid0(VALU_DEP_2) | instskip(SKIP_3) | instid1(VALU_DEP_1)
	v_dual_add_f32 v0, v59, v0 :: v_dual_add_f32 v59, v58, v66
	v_add_f32_e32 v66, v60, v48
	v_sub_f32_e32 v48, v50, v48
	v_sub_f32_e32 v50, v58, v60
	v_add_f32_e32 v48, v50, v48
	s_delay_alu instid0(VALU_DEP_4) | instskip(SKIP_1) | instid1(VALU_DEP_1)
	v_fmac_f32_e32 v10, -0.5, v66
	s_wait_loadcnt 0xa
	v_dual_add_f32 v66, v43, v33 :: v_dual_fmamk_f32 v75, v49, 0x3f737871, v10
	s_delay_alu instid0(VALU_DEP_1)
	v_fmac_f32_e32 v75, 0xbf167918, v47
	v_fmac_f32_e32 v9, 0x3e9e377a, v76
	;; [unrolled: 1-line block ×3, first 2 shown]
	v_fmamk_f32 v72, v47, 0xbf737871, v77
	v_fmac_f32_e32 v77, 0x3f737871, v47
	v_fmac_f32_e32 v75, 0x3e9e377a, v48
	;; [unrolled: 1-line block ×3, first 2 shown]
	s_delay_alu instid0(VALU_DEP_4) | instskip(NEXT) | instid1(VALU_DEP_4)
	v_fmac_f32_e32 v72, 0xbf167918, v49
	v_fmac_f32_e32 v77, 0x3f167918, v49
	v_add_f32_e32 v49, v33, v11
	s_delay_alu instid0(VALU_DEP_4) | instskip(NEXT) | instid1(VALU_DEP_3)
	v_fmac_f32_e32 v10, 0x3f167918, v47
	v_fmac_f32_e32 v77, 0x3e9e377a, v57
	s_delay_alu instid0(VALU_DEP_3) | instskip(SKIP_1) | instid1(VALU_DEP_2)
	v_dual_add_f32 v47, v35, v49 :: v_dual_fmac_f32 v74, 0x3e9e377a, v76
	v_dual_sub_f32 v49, v36, v46 :: v_dual_add_f32 v58, v45, v35
	v_dual_add_f32 v47, v45, v47 :: v_dual_fmac_f32 v72, 0x3e9e377a, v57
	s_delay_alu instid0(VALU_DEP_2) | instskip(SKIP_2) | instid1(VALU_DEP_4)
	v_fma_f32 v50, -0.5, v58, v11
	v_dual_sub_f32 v58, v34, v44 :: v_dual_fmac_f32 v11, -0.5, v66
	v_sub_f32_e32 v66, v45, v43
	v_add_f32_e32 v47, v43, v47
	s_delay_alu instid0(VALU_DEP_3) | instskip(SKIP_1) | instid1(VALU_DEP_2)
	v_dual_fmamk_f32 v57, v58, 0x3f737871, v50 :: v_dual_add_f32 v76, v60, v59
	v_dual_sub_f32 v59, v33, v35 :: v_dual_sub_f32 v60, v43, v45
	v_fmac_f32_e32 v57, 0x3f167918, v49
	s_delay_alu instid0(VALU_DEP_2) | instskip(SKIP_2) | instid1(VALU_DEP_3)
	v_dual_add_f32 v59, v60, v59 :: v_dual_sub_f32 v60, v35, v33
	v_dual_sub_f32 v33, v33, v43 :: v_dual_fmac_f32 v50, 0xbf737871, v58
	v_sub_f32_e32 v35, v35, v45
	v_fmac_f32_e32 v57, 0x3e9e377a, v59
	s_delay_alu instid0(VALU_DEP_4) | instskip(NEXT) | instid1(VALU_DEP_4)
	v_add_f32_e32 v43, v66, v60
	v_dual_sub_f32 v45, v34, v36 :: v_dual_fmac_f32 v50, 0xbf167918, v49
	s_delay_alu instid0(VALU_DEP_3) | instskip(NEXT) | instid1(VALU_DEP_2)
	v_mul_f32_e32 v80, 0xbf167918, v57
	v_fmac_f32_e32 v50, 0x3e9e377a, v59
	v_fmamk_f32 v59, v49, 0xbf737871, v11
	v_fmac_f32_e32 v11, 0x3f737871, v49
	v_add_f32_e32 v49, v44, v34
	s_delay_alu instid0(VALU_DEP_3) | instskip(SKIP_1) | instid1(VALU_DEP_4)
	v_fmac_f32_e32 v59, 0x3f167918, v58
	v_fmac_f32_e32 v10, 0x3e9e377a, v48
	v_dual_add_f32 v48, v46, v36 :: v_dual_fmac_f32 v11, 0xbf167918, v58
	s_delay_alu instid0(VALU_DEP_3) | instskip(NEXT) | instid1(VALU_DEP_2)
	v_fmac_f32_e32 v59, 0x3e9e377a, v43
	v_fma_f32 v78, -0.5, v48, v12
	v_add_f32_e32 v48, v34, v12
	s_delay_alu instid0(VALU_DEP_4) | instskip(NEXT) | instid1(VALU_DEP_4)
	v_dual_fmac_f32 v12, -0.5, v49 :: v_dual_fmac_f32 v11, 0x3e9e377a, v43
	v_dual_sub_f32 v34, v36, v34 :: v_dual_mul_f32 v81, 0xbf737871, v59
	s_delay_alu instid0(VALU_DEP_3) | instskip(SKIP_1) | instid1(VALU_DEP_4)
	v_dual_add_f32 v43, v36, v48 :: v_dual_fmamk_f32 v58, v33, 0xbf737871, v78
	v_sub_f32_e32 v48, v44, v46
	v_fmamk_f32 v60, v35, 0x3f737871, v12
	v_fmac_f32_e32 v12, 0xbf737871, v35
	v_sub_f32_e32 v36, v46, v44
	v_fmac_f32_e32 v78, 0x3f737871, v33
	v_add_f32_e32 v45, v48, v45
	v_fmac_f32_e32 v60, 0xbf167918, v33
	v_dual_fmac_f32 v12, 0x3f167918, v33 :: v_dual_add_f32 v33, v46, v43
	v_fmac_f32_e32 v58, 0xbf167918, v35
	s_delay_alu instid0(VALU_DEP_2) | instskip(NEXT) | instid1(VALU_DEP_2)
	v_dual_mul_f32 v43, 0x3e9e377a, v59 :: v_dual_add_f32 v44, v44, v33
	v_fmac_f32_e32 v58, 0x3e9e377a, v45
	v_mul_f32_e32 v33, 0x3f4f1bbd, v50
	v_add_f32_e32 v34, v36, v34
	v_mul_f32_e32 v36, 0x3f4f1bbd, v57
	s_delay_alu instid0(VALU_DEP_4) | instskip(NEXT) | instid1(VALU_DEP_2)
	v_fmac_f32_e32 v80, 0x3f4f1bbd, v58
	v_fmac_f32_e32 v36, 0x3f167918, v58
	s_delay_alu instid0(VALU_DEP_1) | instskip(SKIP_2) | instid1(VALU_DEP_2)
	v_dual_sub_f32 v58, v0, v47 :: v_dual_sub_f32 v59, v65, v36
	v_fmac_f32_e32 v60, 0x3e9e377a, v34
	v_add_f32_e32 v46, v65, v36
	v_fmac_f32_e32 v81, 0x3e9e377a, v60
	v_fmac_f32_e32 v78, 0x3f167918, v35
	;; [unrolled: 1-line block ×3, first 2 shown]
	v_mul_f32_e32 v34, 0x3e9e377a, v11
	s_delay_alu instid0(VALU_DEP_3) | instskip(NEXT) | instid1(VALU_DEP_2)
	v_dual_fmac_f32 v78, 0x3e9e377a, v45 :: v_dual_add_f32 v45, v47, v0
	v_fma_f32 v66, 0x3f737871, v12, -v34
	s_wait_loadcnt 0x1
	v_dual_sub_f32 v47, v32, v40 :: v_dual_add_f32 v0, v37, v41
	s_delay_alu instid0(VALU_DEP_3) | instskip(NEXT) | instid1(VALU_DEP_3)
	v_fma_f32 v79, 0x3f167918, v78, -v33
	v_add_f32_e32 v49, v9, v66
	v_sub_f32_e32 v65, v9, v66
	v_add_f32_e32 v9, v31, v5
	v_fmac_f32_e32 v43, 0x3f737871, v60
	v_fma_f32 v0, -0.5, v0, v5
	v_add_f32_e32 v57, v73, v79
	v_sub_f32_e32 v66, v73, v79
	v_add_f32_e32 v79, v39, v31
	s_delay_alu instid0(VALU_DEP_4)
	v_dual_sub_f32 v60, v74, v43 :: v_dual_fmamk_f32 v73, v47, 0x3f737871, v0
	v_add_f32_e32 v48, v74, v43
	v_sub_f32_e32 v74, v42, v38
	v_mul_f32_e32 v33, 0x3f4f1bbd, v78
	v_sub_f32_e32 v43, v72, v80
	v_sub_f32_e32 v36, v76, v44
	v_fmac_f32_e32 v0, 0xbf737871, v47
	v_fmac_f32_e32 v73, 0x3f167918, v74
	v_mul_f32_e32 v12, 0x3e9e377a, v12
	v_fma_f32 v50, 0xbf167918, v50, -v33
	v_add_f32_e32 v33, v75, v81
	v_fmac_f32_e32 v5, -0.5, v79
	v_add_f32_e32 v79, v38, v42
	v_fma_f32 v78, 0xbf737871, v11, -v12
	v_dual_add_f32 v11, v44, v76 :: v_dual_sub_f32 v44, v75, v81
	v_sub_f32_e32 v75, v31, v41
	v_sub_f32_e32 v76, v39, v37
	v_add_f32_e32 v12, v72, v80
	v_add_f32_e32 v34, v10, v78
	;; [unrolled: 1-line block ×5, first 2 shown]
	v_sub_f32_e32 v76, v41, v31
	v_dual_sub_f32 v31, v31, v39 :: v_dual_fmac_f32 v0, 0xbf167918, v74
	v_sub_f32_e32 v9, v10, v78
	s_delay_alu instid0(VALU_DEP_4) | instskip(SKIP_1) | instid1(VALU_DEP_4)
	v_fmac_f32_e32 v73, 0x3e9e377a, v75
	v_fma_f32 v83, -0.5, v79, v6
	v_dual_fmac_f32 v0, 0x3e9e377a, v75 :: v_dual_sub_f32 v75, v40, v38
	v_add_f32_e32 v72, v37, v72
	v_sub_f32_e32 v10, v77, v50
	v_sub_f32_e32 v77, v37, v39
	v_dual_sub_f32 v37, v41, v37 :: v_dual_add_f32 v78, v32, v6
	s_delay_alu instid0(VALU_DEP_4) | instskip(SKIP_4) | instid1(VALU_DEP_4)
	v_add_f32_e32 v50, v39, v72
	v_fmamk_f32 v72, v74, 0xbf737871, v5
	v_fmac_f32_e32 v5, 0x3f737871, v74
	v_sub_f32_e32 v41, v32, v42
	v_add_f32_e32 v74, v42, v78
	v_fmac_f32_e32 v72, 0x3f167918, v47
	s_delay_alu instid0(VALU_DEP_4) | instskip(SKIP_4) | instid1(VALU_DEP_4)
	v_fmac_f32_e32 v5, 0xbf167918, v47
	v_fmamk_f32 v47, v31, 0xbf737871, v83
	v_fmac_f32_e32 v83, 0x3f737871, v31
	v_dual_add_f32 v39, v38, v74 :: v_dual_add_f32 v74, v40, v32
	v_add_f32_e32 v41, v75, v41
	v_fmac_f32_e32 v47, 0xbf167918, v37
	s_delay_alu instid0(VALU_DEP_4) | instskip(NEXT) | instid1(VALU_DEP_4)
	v_dual_fmac_f32 v83, 0x3f167918, v37 :: v_dual_sub_f32 v32, v42, v32
	v_dual_sub_f32 v42, v13, v25 :: v_dual_add_f32 v39, v40, v39
	s_delay_alu instid0(VALU_DEP_3) | instskip(NEXT) | instid1(VALU_DEP_3)
	v_dual_fmac_f32 v47, 0x3e9e377a, v41 :: v_dual_add_f32 v76, v77, v76
	v_fmac_f32_e32 v83, 0x3e9e377a, v41
	v_dual_sub_f32 v41, v26, v24 :: v_dual_fmac_f32 v6, -0.5, v74
	s_wait_loadcnt 0x0
	v_sub_f32_e32 v74, v15, v23
	v_dual_fmac_f32 v72, 0x3e9e377a, v76 :: v_dual_add_f32 v75, v15, v13
	s_delay_alu instid0(VALU_DEP_3) | instskip(SKIP_1) | instid1(VALU_DEP_4)
	v_dual_sub_f32 v38, v38, v40 :: v_dual_fmamk_f32 v81, v37, 0x3f737871, v6
	v_dual_fmac_f32 v6, 0xbf737871, v37 :: v_dual_add_f32 v37, v13, v7
	v_add_f32_e32 v42, v74, v42
	s_delay_alu instid0(VALU_DEP_3) | instskip(NEXT) | instid1(VALU_DEP_3)
	v_dual_sub_f32 v74, v25, v13 :: v_dual_fmac_f32 v81, 0xbf167918, v31
	v_dual_fmac_f32 v6, 0x3f167918, v31 :: v_dual_add_f32 v31, v25, v37
	v_dual_sub_f32 v13, v13, v15 :: v_dual_add_f32 v40, v23, v25
	v_fmac_f32_e32 v5, 0x3e9e377a, v76
	s_delay_alu instid0(VALU_DEP_3) | instskip(NEXT) | instid1(VALU_DEP_3)
	v_dual_add_f32 v31, v23, v31 :: v_dual_add_f32 v32, v38, v32
	v_fma_f32 v38, -0.5, v40, v7
	v_dual_fmac_f32 v7, -0.5, v75 :: v_dual_sub_f32 v40, v14, v16
	v_sub_f32_e32 v75, v23, v15
	s_delay_alu instid0(VALU_DEP_4)
	v_add_f32_e32 v31, v15, v31
	v_fmac_f32_e32 v81, 0x3e9e377a, v32
	v_sub_f32_e32 v23, v25, v23
	v_sub_f32_e32 v25, v14, v26
	v_dual_add_f32 v15, v75, v74 :: v_dual_fmac_f32 v6, 0x3e9e377a, v32
	v_fmamk_f32 v32, v41, 0xbf737871, v7
	v_fmac_f32_e32 v7, 0x3f737871, v41
	v_fmamk_f32 v37, v40, 0x3f737871, v38
	v_fmac_f32_e32 v38, 0xbf737871, v40
	s_delay_alu instid0(VALU_DEP_4) | instskip(NEXT) | instid1(VALU_DEP_4)
	v_fmac_f32_e32 v32, 0x3f167918, v40
	v_fmac_f32_e32 v7, 0xbf167918, v40
	s_delay_alu instid0(VALU_DEP_4) | instskip(NEXT) | instid1(VALU_DEP_4)
	v_fmac_f32_e32 v37, 0x3f167918, v41
	v_fmac_f32_e32 v38, 0xbf167918, v41
	v_add_f32_e32 v40, v14, v8
	v_fmac_f32_e32 v32, 0x3e9e377a, v15
	v_fmac_f32_e32 v7, 0x3e9e377a, v15
	;; [unrolled: 1-line block ×3, first 2 shown]
	s_delay_alu instid0(VALU_DEP_4) | instskip(SKIP_3) | instid1(VALU_DEP_3)
	v_add_f32_e32 v15, v26, v40
	v_sub_f32_e32 v40, v16, v24
	v_fmac_f32_e32 v38, 0x3e9e377a, v42
	v_add_f32_e32 v42, v24, v26
	v_dual_add_f32 v25, v40, v25 :: v_dual_mul_f32 v40, 0x3e9e377a, v32
	s_delay_alu instid0(VALU_DEP_2) | instskip(SKIP_3) | instid1(VALU_DEP_4)
	v_fma_f32 v41, -0.5, v42, v8
	v_add_f32_e32 v42, v16, v14
	v_sub_f32_e32 v14, v26, v14
	v_sub_f32_e32 v26, v24, v16
	v_fmamk_f32 v74, v13, 0xbf737871, v41
	s_delay_alu instid0(VALU_DEP_2) | instskip(SKIP_2) | instid1(VALU_DEP_3)
	v_dual_fmac_f32 v41, 0x3f737871, v13 :: v_dual_add_f32 v14, v26, v14
	v_mul_f32_e32 v26, 0x3f4f1bbd, v37
	v_dual_mul_f32 v37, 0xbf167918, v37 :: v_dual_fmac_f32 v8, -0.5, v42
	v_fmac_f32_e32 v41, 0x3f167918, v23
	s_delay_alu instid0(VALU_DEP_2) | instskip(SKIP_1) | instid1(VALU_DEP_3)
	v_fmamk_f32 v42, v23, 0x3f737871, v8
	v_fmac_f32_e32 v8, 0xbf737871, v23
	v_fmac_f32_e32 v41, 0x3e9e377a, v25
	s_delay_alu instid0(VALU_DEP_3) | instskip(NEXT) | instid1(VALU_DEP_3)
	v_fmac_f32_e32 v42, 0xbf167918, v13
	v_dual_fmac_f32 v8, 0x3f167918, v13 :: v_dual_add_f32 v13, v24, v15
	s_delay_alu instid0(VALU_DEP_3) | instskip(NEXT) | instid1(VALU_DEP_2)
	v_mul_f32_e32 v24, 0x3f4f1bbd, v41
	v_add_f32_e32 v79, v16, v13
	v_dual_add_f32 v13, v31, v50 :: v_dual_fmac_f32 v74, 0xbf167918, v23
	v_mul_f32_e32 v23, 0x3f4f1bbd, v38
	s_delay_alu instid0(VALU_DEP_4) | instskip(SKIP_1) | instid1(VALU_DEP_4)
	v_fma_f32 v38, 0xbf167918, v38, -v24
	v_sub_f32_e32 v24, v50, v31
	v_fmac_f32_e32 v74, 0x3e9e377a, v25
	s_delay_alu instid0(VALU_DEP_4) | instskip(NEXT) | instid1(VALU_DEP_4)
	v_fma_f32 v80, 0x3f167918, v41, -v23
	v_add_f32_e32 v78, v83, v38
	v_sub_f32_e32 v83, v83, v38
	s_delay_alu instid0(VALU_DEP_4) | instskip(SKIP_3) | instid1(VALU_DEP_2)
	v_fmac_f32_e32 v26, 0x3f167918, v74
	v_dual_fmac_f32 v37, 0x3f4f1bbd, v74 :: v_dual_add_f32 v74, v79, v39
	v_dual_sub_f32 v79, v39, v79 :: v_dual_fmac_f32 v42, 0x3e9e377a, v14
	v_add_f32_e32 v23, v0, v80
	v_dual_add_f32 v75, v47, v37 :: v_dual_fmac_f32 v40, 0x3f737871, v42
	s_delay_alu instid0(VALU_DEP_1) | instskip(SKIP_1) | instid1(VALU_DEP_1)
	v_add_f32_e32 v15, v72, v40
	v_mul_f32_e32 v32, 0xbf737871, v32
	v_fmac_f32_e32 v32, 0x3e9e377a, v42
	s_delay_alu instid0(VALU_DEP_1) | instskip(SKIP_2) | instid1(VALU_DEP_1)
	v_add_f32_e32 v76, v81, v32
	v_dual_sub_f32 v81, v81, v32 :: v_dual_fmac_f32 v8, 0x3e9e377a, v14
	v_mul_f32_e32 v14, 0x3e9e377a, v7
	v_fma_f32 v25, 0x3f737871, v8, -v14
	v_mul_f32_e32 v8, 0x3e9e377a, v8
	v_add_f32_e32 v14, v73, v26
	s_delay_alu instid0(VALU_DEP_3) | instskip(NEXT) | instid1(VALU_DEP_3)
	v_add_f32_e32 v16, v5, v25
	v_fma_f32 v41, 0xbf737871, v7, -v8
	v_dual_sub_f32 v7, v73, v26 :: v_dual_sub_f32 v26, v0, v80
	v_mul_u32_u24_e32 v0, 10, v67
	v_sub_f32_e32 v25, v5, v25
	v_mul_i32_i24_e32 v5, 10, v69
	v_add_f32_e32 v77, v6, v41
	v_sub_f32_e32 v82, v6, v41
	v_mul_i32_i24_e32 v6, 10, v71
	v_lshl_add_u32 v84, v0, 2, 0
	v_lshl_add_u32 v0, v5, 2, 0
	v_sub_f32_e32 v80, v47, v37
	v_sub_f32_e32 v8, v72, v40
	v_lshl_add_u32 v47, v6, 2, 0
	ds_store_2addr_b64 v84, v[51:52], v[53:54] offset1:1
	ds_store_2addr_b64 v84, v[55:56], v[61:62] offset0:2 offset1:3
	v_and_b32_e32 v53, 0xff, v69
	ds_store_b64 v84, v[63:64] offset:32
	ds_store_2addr_b64 v0, v[45:46], v[48:49] offset1:1
	ds_store_2addr_b64 v0, v[57:58], v[59:60] offset0:2 offset1:3
	ds_store_b64 v0, v[65:66] offset:32
	ds_store_2addr_b64 v47, v[13:14], v[15:16] offset1:1
	ds_store_2addr_b64 v47, v[23:24], v[7:8] offset0:2 offset1:3
	v_and_b32_e32 v23, 0xff, v67
	v_mad_i32_i24 v48, 0xffffffdc, v67, v84
	v_lshl_add_u32 v49, v68, 2, 0
	v_mul_lo_u16 v85, 0xcd, v53
	v_mad_i32_i24 v51, 0xffffffdc, v69, v0
	v_mul_lo_u16 v23, 0xcd, v23
	v_add_nc_u32_e32 v126, 0x1200, v48
	v_add_nc_u32_e32 v65, 0x1600, v48
	v_add_nc_u32_e32 v63, 0x2000, v48
	v_add_nc_u32_e32 v124, 0xa00, v48
	v_lshrrev_b16 v54, 11, v23
	v_add_nc_u32_e32 v61, 0x2400, v48
	v_add_nc_u32_e32 v62, 0x2c00, v48
	;; [unrolled: 1-line block ×4, first 2 shown]
	v_mul_lo_u16 v55, v54, 10
	v_mad_i32_i24 v52, 0xffffffdc, v71, v47
	s_delay_alu instid0(VALU_DEP_2) | instskip(NEXT) | instid1(VALU_DEP_1)
	v_sub_nc_u16 v55, v67, v55
	v_and_b32_e32 v56, 0xff, v55
	v_lshrrev_b16 v55, 11, v85
	v_and_b32_e32 v85, 0xffff, v71
	ds_store_b64 v47, v[25:26] offset:32
	global_wb scope:SCOPE_SE
	s_wait_dscnt 0x0
	s_wait_kmcnt 0x0
	s_barrier_signal -1
	s_barrier_wait -1
	global_inv scope:SCOPE_SE
	ds_load_2addr_b32 v[116:117], v126 offset0:48 offset1:168
	v_add_nc_u32_e32 v64, 0x1a00, v48
	ds_load_2addr_b32 v[25:26], v65 offset0:32 offset1:152
	v_add_nc_u32_e32 v66, 0xe00, v48
	;; [unrolled: 2-line block ×4, first 2 shown]
	v_add_nc_u32_e32 v50, 0x1c00, v48
	ds_load_2addr_b32 v[37:38], v124 offset0:80 offset1:200
	ds_load_2addr_b32 v[31:32], v66 offset0:64 offset1:184
	;; [unrolled: 1-line block ×9, first 2 shown]
	ds_load_b32 v59, v48
	ds_load_b32 v127, v49
	;; [unrolled: 1-line block ×4, first 2 shown]
	global_wb scope:SCOPE_SE
	s_wait_dscnt 0x0
	s_barrier_signal -1
	s_barrier_wait -1
	global_inv scope:SCOPE_SE
	ds_store_2addr_b64 v84, v[17:18], v[19:20] offset1:1
	ds_store_2addr_b64 v84, v[21:22], v[27:28] offset0:2 offset1:3
	ds_store_b64 v84, v[29:30] offset:32
	v_mul_lo_u16 v17, v55, 10
	v_mul_u32_u24_e32 v18, 0xcccd, v85
	ds_store_2addr_b64 v0, v[11:12], v[33:34] offset1:1
	ds_store_2addr_b64 v0, v[35:36], v[43:44] offset0:2 offset1:3
	ds_store_b64 v0, v[9:10] offset:32
	v_mul_u32_u24_e32 v11, 9, v56
	v_sub_nc_u16 v10, v69, v17
	v_lshrrev_b32_e32 v9, 19, v18
	s_delay_alu instid0(VALU_DEP_3) | instskip(NEXT) | instid1(VALU_DEP_3)
	v_lshlrev_b32_e32 v21, 3, v11
	v_and_b32_e32 v10, 0xff, v10
	s_delay_alu instid0(VALU_DEP_3) | instskip(NEXT) | instid1(VALU_DEP_2)
	v_mul_lo_u16 v12, v9, 10
	v_mul_u32_u24_e32 v11, 9, v10
	s_delay_alu instid0(VALU_DEP_2) | instskip(NEXT) | instid1(VALU_DEP_2)
	v_sub_nc_u16 v12, v71, v12
	v_lshlrev_b32_e32 v22, 3, v11
	s_delay_alu instid0(VALU_DEP_2)
	v_and_b32_e32 v11, 0xffff, v12
	ds_store_2addr_b64 v47, v[74:75], v[76:77] offset1:1
	ds_store_2addr_b64 v47, v[78:79], v[80:81] offset0:2 offset1:3
	ds_store_b64 v47, v[82:83] offset:32
	global_wb scope:SCOPE_SE
	s_wait_dscnt 0x0
	s_barrier_signal -1
	s_barrier_wait -1
	global_inv scope:SCOPE_SE
	s_clause 0x1
	global_load_b128 v[17:20], v21, s[8:9]
	global_load_b128 v[33:36], v22, s[8:9]
	v_mul_u32_u24_e32 v12, 9, v11
	s_delay_alu instid0(VALU_DEP_1)
	v_lshlrev_b32_e32 v12, 3, v12
	s_clause 0xc
	global_load_b128 v[74:77], v12, s[8:9]
	global_load_b128 v[78:81], v21, s[8:9] offset:16
	global_load_b128 v[82:85], v22, s[8:9] offset:16
	;; [unrolled: 1-line block ×8, first 2 shown]
	global_load_b64 v[118:119], v21, s[8:9] offset:64
	global_load_b128 v[110:113], v12, s[8:9] offset:48
	global_load_b64 v[120:121], v22, s[8:9] offset:64
	global_load_b64 v[122:123], v12, s[8:9] offset:64
	ds_load_b32 v22, v49
	ds_load_2addr_b32 v[27:28], v124 offset0:80 offset1:200
	ds_load_2addr_b32 v[43:44], v125 offset0:96 offset1:216
	ds_load_b32 v21, v51
	ds_load_b32 v12, v52
	;; [unrolled: 1-line block ×3, first 2 shown]
	ds_load_2addr_b32 v[124:125], v66 offset0:64 offset1:184
	ds_load_2addr_b32 v[65:66], v65 offset0:32 offset1:152
	s_wait_loadcnt_dscnt 0xe07
	v_mul_f32_e32 v29, v22, v18
	v_mul_f32_e32 v129, v127, v18
	s_wait_loadcnt 0xd
	v_mul_f32_e32 v30, v114, v34
	s_wait_dscnt 0x6
	v_mul_f32_e32 v18, v27, v20
	v_mul_f32_e32 v130, v37, v20
	v_fma_f32 v127, v127, v17, -v29
	v_fmac_f32_e32 v129, v22, v17
	s_wait_dscnt 0x5
	v_mul_f32_e32 v17, v43, v34
	v_fmac_f32_e32 v30, v43, v33
	v_mul_f32_e32 v20, v28, v36
	v_mul_f32_e32 v133, v38, v36
	s_wait_loadcnt 0xa
	v_mul_f32_e32 v43, v116, v83
	v_fma_f32 v29, v114, v33, -v17
	ds_load_2addr_b32 v[33:34], v126 offset0:48 offset1:168
	v_fma_f32 v132, v38, v35, -v20
	s_wait_dscnt 0x2
	v_mul_f32_e32 v20, v125, v79
	v_fma_f32 v131, v37, v19, -v18
	v_fmac_f32_e32 v133, v28, v35
	ds_load_2addr_b32 v[35:36], v64 offset0:16 offset1:136
	ds_load_2addr_b32 v[37:38], v61 offset0:96 offset1:216
	v_fma_f32 v64, v32, v78, -v20
	v_dual_mul_f32 v22, v31, v77 :: v_dual_mul_f32 v17, v44, v75
	s_delay_alu instid0(VALU_DEP_1) | instskip(NEXT) | instid1(VALU_DEP_2)
	v_fmac_f32_e32 v22, v124, v76
	v_fma_f32 v17, v115, v74, -v17
	s_wait_dscnt 0x2
	v_mul_f32_e32 v20, v33, v83
	v_fmac_f32_e32 v43, v33, v82
	ds_load_2addr_b32 v[61:62], v62 offset0:64 offset1:184
	s_wait_loadcnt 0x7
	v_mul_f32_e32 v83, v7, v97
	v_dual_fmac_f32 v130, v27, v19 :: v_dual_mul_f32 v19, v124, v77
	v_mul_f32_e32 v77, v32, v79
	s_wait_dscnt 0x2
	v_dual_mul_f32 v79, v26, v85 :: v_dual_mul_f32 v28, v36, v91
	s_delay_alu instid0(VALU_DEP_3)
	v_fma_f32 v27, v31, v76, -v19
	ds_load_2addr_b32 v[31:32], v63 offset0:112 offset1:232
	v_mul_f32_e32 v19, v65, v81
	v_fmac_f32_e32 v77, v125, v78
	v_mul_f32_e32 v63, v16, v91
	v_fmac_f32_e32 v79, v66, v84
	s_delay_alu instid0(VALU_DEP_4)
	v_fma_f32 v78, v25, v80, -v19
	v_mul_f32_e32 v76, v25, v81
	v_mul_f32_e32 v19, v66, v85
	;; [unrolled: 1-line block ×3, first 2 shown]
	v_fmac_f32_e32 v63, v36, v90
	v_fma_f32 v66, v16, v90, -v28
	v_fmac_f32_e32 v76, v65, v80
	v_fma_f32 v80, v26, v84, -v19
	v_dual_mul_f32 v26, v35, v89 :: v_dual_mul_f32 v19, v117, v87
	v_fmac_f32_e32 v25, v35, v88
	v_mul_f32_e32 v65, v13, v93
	ds_load_2addr_b32 v[35:36], v73 offset0:80 offset1:200
	v_fma_f32 v15, v15, v88, -v26
	s_wait_dscnt 0x1
	v_mul_f32_e32 v26, v31, v93
	v_dual_mul_f32 v18, v115, v75 :: v_dual_fmac_f32 v19, v34, v86
	v_mul_f32_e32 v16, v61, v97
	v_fmac_f32_e32 v83, v61, v96
	s_delay_alu instid0(VALU_DEP_4) | instskip(NEXT) | instid1(VALU_DEP_4)
	v_fma_f32 v81, v13, v92, -v26
	v_dual_mul_f32 v13, v38, v95 :: v_dual_fmac_f32 v18, v44, v74
	v_fma_f32 v44, v116, v82, -v20
	v_mul_f32_e32 v20, v34, v87
	ds_load_2addr_b32 v[33:34], v50 offset0:128 offset1:248
	v_mul_f32_e32 v82, v6, v95
	v_fma_f32 v84, v6, v94, -v13
	s_wait_loadcnt 0x6
	v_mul_f32_e32 v6, v32, v101
	v_fma_f32 v20, v117, v86, -v20
	s_wait_loadcnt 0x4
	v_mul_f32_e32 v28, v62, v109
	v_fmac_f32_e32 v82, v38, v94
	v_fma_f32 v38, v7, v96, -v16
	v_fma_f32 v85, v14, v100, -v6
	v_mul_f32_e32 v86, v14, v101
	ds_load_2addr_b32 v[13:14], v60 offset0:48 offset1:168
	v_mul_f32_e32 v6, v46, v103
	v_fma_f32 v87, v8, v108, -v28
	v_dual_fmac_f32 v65, v31, v92 :: v_dual_mul_f32 v74, v45, v99
	v_mul_f32_e32 v26, v37, v105
	s_wait_loadcnt_dscnt 0x202
	v_dual_mul_f32 v28, v36, v111 :: v_dual_add_f32 v61, v131, v38
	v_fmac_f32_e32 v86, v32, v100
	s_wait_dscnt 0x1
	v_dual_sub_f32 v60, v38, v81 :: v_dual_mul_f32 v7, v33, v99
	v_mul_f32_e32 v16, v34, v103
	v_fmac_f32_e32 v6, v34, v102
	v_mul_f32_e32 v34, v40, v119
	v_fma_f32 v26, v5, v104, -v26
	v_fma_f32 v75, v45, v98, -v7
	;; [unrolled: 1-line block ×3, first 2 shown]
	v_mul_f32_e32 v46, v8, v109
	v_mul_f32_e32 v16, v5, v105
	;; [unrolled: 1-line block ×3, first 2 shown]
	s_wait_dscnt 0x0
	v_mul_f32_e32 v8, v14, v119
	v_fmac_f32_e32 v34, v14, v118
	v_mul_f32_e32 v14, v13, v113
	v_dual_fmac_f32 v16, v37, v104 :: v_dual_mul_f32 v5, v35, v107
	v_fmac_f32_e32 v45, v35, v106
	v_fma_f32 v35, v40, v118, -v8
	s_delay_alu instid0(VALU_DEP_4)
	v_fma_f32 v31, v39, v112, -v14
	v_add_f32_e32 v14, v78, v81
	v_fma_f32 v8, v42, v110, -v28
	v_mul_f32_e32 v28, v39, v113
	v_add_f32_e32 v37, v59, v131
	v_fma_f32 v41, v41, v106, -v5
	v_fma_f32 v39, -0.5, v14, v59
	v_fmac_f32_e32 v59, -0.5, v61
	v_add_f32_e32 v61, v128, v130
	v_fmac_f32_e32 v74, v33, v98
	ds_load_2addr_b32 v[32:33], v72 offset0:32 offset1:152
	s_wait_loadcnt 0x1
	v_dual_mul_f32 v5, v42, v111 :: v_dual_mul_f32 v40, v23, v121
	v_sub_f32_e32 v42, v130, v83
	v_fmac_f32_e32 v46, v62, v108
	v_add_f32_e32 v62, v76, v65
	s_delay_alu instid0(VALU_DEP_4)
	v_fmac_f32_e32 v5, v36, v110
	v_lshlrev_b32_e32 v10, 2, v10
	global_wb scope:SCOPE_SE
	s_wait_loadcnt_dscnt 0x0
	s_barrier_signal -1
	v_fma_f32 v72, -0.5, v62, v128
	v_sub_f32_e32 v62, v83, v65
	s_barrier_wait -1
	global_inv scope:SCOPE_SE
	v_mul_f32_e32 v36, v32, v121
	v_fmac_f32_e32 v40, v32, v120
	v_sub_f32_e32 v32, v76, v65
	s_delay_alu instid0(VALU_DEP_3) | instskip(SKIP_3) | instid1(VALU_DEP_4)
	v_fma_f32 v88, v23, v120, -v36
	v_fmamk_f32 v36, v42, 0x3f737871, v39
	v_fmac_f32_e32 v39, 0xbf737871, v42
	v_add_f32_e32 v23, v37, v78
	v_dual_sub_f32 v37, v131, v78 :: v_dual_sub_f32 v92, v41, v88
	s_delay_alu instid0(VALU_DEP_4) | instskip(NEXT) | instid1(VALU_DEP_4)
	v_fmac_f32_e32 v36, 0x3f167918, v32
	v_fmac_f32_e32 v39, 0xbf167918, v32
	;; [unrolled: 1-line block ×3, first 2 shown]
	v_mul_f32_e32 v13, v33, v123
	v_add_f32_e32 v23, v23, v81
	s_delay_alu instid0(VALU_DEP_2) | instskip(SKIP_1) | instid1(VALU_DEP_3)
	v_fma_f32 v14, v24, v122, -v13
	v_dual_mul_f32 v13, v24, v123 :: v_dual_add_f32 v24, v37, v60
	v_dual_add_f32 v37, v23, v38 :: v_dual_fmamk_f32 v60, v32, 0xbf737871, v59
	v_sub_f32_e32 v23, v78, v131
	s_delay_alu instid0(VALU_DEP_3)
	v_fmac_f32_e32 v13, v33, v122
	v_sub_f32_e32 v33, v81, v38
	v_fmac_f32_e32 v59, 0x3f737871, v32
	v_add_f32_e32 v32, v61, v76
	v_fmac_f32_e32 v36, 0x3e9e377a, v24
	v_fmac_f32_e32 v39, 0x3e9e377a, v24
	v_add_f32_e32 v23, v23, v33
	v_sub_f32_e32 v33, v131, v38
	v_dual_fmac_f32 v59, 0xbf167918, v42 :: v_dual_add_f32 v24, v32, v65
	v_fmac_f32_e32 v60, 0x3f167918, v42
	v_add_f32_e32 v32, v130, v83
	v_sub_f32_e32 v38, v78, v81
	v_sub_f32_e32 v61, v130, v76
	v_fmac_f32_e32 v59, 0x3e9e377a, v23
	v_dual_fmamk_f32 v42, v33, 0xbf737871, v72 :: v_dual_add_f32 v73, v24, v83
	v_fmac_f32_e32 v72, 0x3f737871, v33
	v_fmac_f32_e32 v60, 0x3e9e377a, v23
	v_dual_fmac_f32 v128, -0.5, v32 :: v_dual_add_f32 v23, v61, v62
	v_sub_f32_e32 v24, v76, v130
	v_dual_sub_f32 v32, v65, v83 :: v_dual_add_f32 v61, v127, v64
	v_fmac_f32_e32 v72, 0x3f167918, v38
	v_dual_fmac_f32 v42, 0xbf167918, v38 :: v_dual_sub_f32 v65, v66, v64
	s_delay_alu instid0(VALU_DEP_3) | instskip(NEXT) | instid1(VALU_DEP_4)
	v_add_f32_e32 v24, v24, v32
	v_add_f32_e32 v32, v61, v66
	s_delay_alu instid0(VALU_DEP_4) | instskip(SKIP_2) | instid1(VALU_DEP_4)
	v_fmac_f32_e32 v72, 0x3e9e377a, v23
	v_fmamk_f32 v78, v38, 0x3f737871, v128
	v_fmac_f32_e32 v128, 0xbf737871, v38
	v_dual_fmac_f32 v42, 0x3e9e377a, v23 :: v_dual_add_f32 v23, v32, v84
	v_add_f32_e32 v32, v64, v35
	s_delay_alu instid0(VALU_DEP_4) | instskip(NEXT) | instid1(VALU_DEP_4)
	v_fmac_f32_e32 v78, 0xbf167918, v33
	v_dual_fmac_f32 v128, 0x3f167918, v33 :: v_dual_sub_f32 v33, v77, v34
	v_add_f32_e32 v38, v66, v84
	v_add_f32_e32 v76, v23, v35
	s_delay_alu instid0(VALU_DEP_4) | instskip(NEXT) | instid1(VALU_DEP_4)
	v_fmac_f32_e32 v78, 0x3e9e377a, v24
	v_dual_fmac_f32 v128, 0x3e9e377a, v24 :: v_dual_sub_f32 v23, v63, v82
	s_delay_alu instid0(VALU_DEP_4) | instskip(SKIP_2) | instid1(VALU_DEP_3)
	v_fma_f32 v38, -0.5, v38, v127
	v_dual_fmac_f32 v127, -0.5, v32 :: v_dual_sub_f32 v24, v64, v66
	v_dual_sub_f32 v32, v35, v84 :: v_dual_sub_f32 v81, v84, v35
	v_fmamk_f32 v61, v33, 0x3f737871, v38
	v_fmac_f32_e32 v38, 0xbf737871, v33
	s_delay_alu instid0(VALU_DEP_4) | instskip(NEXT) | instid1(VALU_DEP_4)
	v_fmamk_f32 v62, v23, 0xbf737871, v127
	v_dual_add_f32 v24, v24, v32 :: v_dual_fmac_f32 v127, 0x3f737871, v23
	s_delay_alu instid0(VALU_DEP_4) | instskip(NEXT) | instid1(VALU_DEP_4)
	v_fmac_f32_e32 v61, 0x3f167918, v23
	v_dual_fmac_f32 v38, 0xbf167918, v23 :: v_dual_add_f32 v23, v63, v82
	s_delay_alu instid0(VALU_DEP_4) | instskip(NEXT) | instid1(VALU_DEP_3)
	v_fmac_f32_e32 v62, 0x3f167918, v33
	v_dual_add_f32 v32, v65, v81 :: v_dual_fmac_f32 v61, 0x3e9e377a, v24
	s_delay_alu instid0(VALU_DEP_3) | instskip(SKIP_2) | instid1(VALU_DEP_4)
	v_fmac_f32_e32 v38, 0x3e9e377a, v24
	v_dual_fmac_f32 v127, 0xbf167918, v33 :: v_dual_add_f32 v24, v77, v34
	v_fma_f32 v65, -0.5, v23, v129
	v_dual_sub_f32 v23, v64, v35 :: v_dual_fmac_f32 v62, 0x3e9e377a, v32
	v_add_f32_e32 v33, v129, v77
	v_sub_f32_e32 v35, v66, v84
	v_fmac_f32_e32 v129, -0.5, v24
	v_fmac_f32_e32 v127, 0x3e9e377a, v32
	v_fmamk_f32 v64, v23, 0xbf737871, v65
	v_sub_f32_e32 v24, v77, v63
	v_sub_f32_e32 v32, v34, v82
	v_fmamk_f32 v66, v35, 0x3f737871, v129
	s_delay_alu instid0(VALU_DEP_4) | instskip(NEXT) | instid1(VALU_DEP_3)
	v_dual_sub_f32 v77, v63, v77 :: v_dual_fmac_f32 v64, 0xbf167918, v35
	v_dual_sub_f32 v81, v82, v34 :: v_dual_add_f32 v24, v24, v32
	v_fmac_f32_e32 v129, 0xbf737871, v35
	v_fmac_f32_e32 v65, 0x3f737871, v23
	;; [unrolled: 1-line block ×3, first 2 shown]
	s_delay_alu instid0(VALU_DEP_4) | instskip(SKIP_3) | instid1(VALU_DEP_4)
	v_add_f32_e32 v32, v77, v81
	v_dual_fmac_f32 v64, 0x3e9e377a, v24 :: v_dual_add_f32 v33, v33, v63
	v_fmac_f32_e32 v129, 0x3f167918, v23
	v_fmac_f32_e32 v65, 0x3f167918, v35
	;; [unrolled: 1-line block ×3, first 2 shown]
	s_delay_alu instid0(VALU_DEP_4) | instskip(SKIP_3) | instid1(VALU_DEP_4)
	v_mul_f32_e32 v77, 0x3f167918, v64
	v_add_f32_e32 v23, v33, v82
	v_dual_fmac_f32 v129, 0x3e9e377a, v32 :: v_dual_mul_f32 v32, 0x3e9e377a, v127
	v_fmac_f32_e32 v65, 0x3e9e377a, v24
	v_fmac_f32_e32 v77, 0x3f4f1bbd, v61
	v_mul_f32_e32 v89, 0xbf167918, v61
	v_mul_f32_e32 v81, 0x3f737871, v66
	v_add_f32_e32 v82, v23, v34
	v_fma_f32 v83, 0x3f737871, v129, -v32
	v_mul_f32_e32 v34, 0x3f4f1bbd, v38
	v_add_f32_e32 v24, v36, v77
	v_mul_f32_e32 v61, 0x3f4f1bbd, v65
	v_dual_fmac_f32 v89, 0x3f4f1bbd, v64 :: v_dual_sub_f32 v36, v36, v77
	v_add_f32_e32 v77, v58, v132
	v_fmac_f32_e32 v81, 0x3e9e377a, v62
	v_add_f32_e32 v33, v59, v83
	v_fma_f32 v84, 0x3f167918, v65, -v34
	v_mul_f32_e32 v90, 0xbf737871, v62
	v_mul_f32_e32 v35, 0x3e9e377a, v129
	v_fma_f32 v91, 0xbf167918, v38, -v61
	v_add_f32_e32 v62, v42, v89
	v_dual_sub_f32 v38, v59, v83 :: v_dual_sub_f32 v59, v42, v89
	v_add_f32_e32 v42, v77, v80
	v_add_f32_e32 v23, v37, v76
	;; [unrolled: 1-line block ×3, first 2 shown]
	v_fmac_f32_e32 v90, 0x3e9e377a, v66
	v_fma_f32 v66, 0xbf737871, v127, -v35
	v_dual_sub_f32 v35, v37, v76 :: v_dual_add_f32 v76, v80, v85
	v_dual_sub_f32 v39, v39, v84 :: v_dual_add_f32 v84, v132, v87
	v_dual_add_f32 v42, v42, v85 :: v_dual_add_f32 v61, v73, v82
	v_sub_f32_e32 v37, v60, v81
	s_delay_alu instid0(VALU_DEP_4)
	v_fma_f32 v76, -0.5, v76, v58
	v_sub_f32_e32 v73, v73, v82
	v_add_f32_e32 v63, v78, v90
	v_add_f32_e32 v65, v72, v91
	v_dual_sub_f32 v83, v87, v85 :: v_dual_fmac_f32 v58, -0.5, v84
	v_sub_f32_e32 v72, v72, v91
	v_add_f32_e32 v42, v42, v87
	v_dual_sub_f32 v84, v80, v132 :: v_dual_sub_f32 v89, v85, v87
	v_add_f32_e32 v91, v79, v86
	v_sub_f32_e32 v87, v132, v87
	v_dual_add_f32 v32, v60, v81 :: v_dual_sub_f32 v81, v133, v46
	v_sub_f32_e32 v82, v132, v80
	v_add_f32_e32 v84, v84, v89
	v_fma_f32 v89, -0.5, v91, v21
	v_dual_sub_f32 v91, v75, v44 :: v_dual_sub_f32 v60, v78, v90
	v_dual_fmamk_f32 v77, v81, 0x3f737871, v76 :: v_dual_sub_f32 v78, v79, v86
	v_add_f32_e32 v82, v82, v83
	v_fmac_f32_e32 v76, 0xbf737871, v81
	v_add_f32_e32 v90, v21, v133
	s_delay_alu instid0(VALU_DEP_4) | instskip(SKIP_2) | instid1(VALU_DEP_3)
	v_dual_sub_f32 v80, v80, v85 :: v_dual_fmac_f32 v77, 0x3f167918, v78
	v_fmamk_f32 v83, v78, 0xbf737871, v58
	v_sub_f32_e32 v85, v133, v79
	v_fmac_f32_e32 v77, 0x3e9e377a, v82
	v_fmac_f32_e32 v76, 0xbf167918, v78
	s_delay_alu instid0(VALU_DEP_4) | instskip(NEXT) | instid1(VALU_DEP_2)
	v_fmac_f32_e32 v83, 0x3f167918, v81
	v_fmac_f32_e32 v76, 0x3e9e377a, v82
	v_fmac_f32_e32 v58, 0x3f737871, v78
	v_add_f32_e32 v78, v90, v79
	s_delay_alu instid0(VALU_DEP_4) | instskip(NEXT) | instid1(VALU_DEP_2)
	v_dual_sub_f32 v90, v46, v86 :: v_dual_fmac_f32 v83, 0x3e9e377a, v84
	v_dual_sub_f32 v79, v79, v133 :: v_dual_add_f32 v78, v78, v86
	s_delay_alu instid0(VALU_DEP_1) | instskip(SKIP_3) | instid1(VALU_DEP_3)
	v_add_f32_e32 v78, v78, v46
	v_fmac_f32_e32 v58, 0xbf167918, v81
	v_fmamk_f32 v81, v87, 0xbf737871, v89
	v_fmac_f32_e32 v89, 0x3f737871, v87
	v_fmac_f32_e32 v58, 0x3e9e377a, v84
	s_delay_alu instid0(VALU_DEP_3) | instskip(NEXT) | instid1(VALU_DEP_3)
	v_dual_add_f32 v82, v133, v46 :: v_dual_fmac_f32 v81, 0xbf167918, v80
	v_dual_sub_f32 v46, v86, v46 :: v_dual_fmac_f32 v89, 0x3f167918, v80
	s_delay_alu instid0(VALU_DEP_2) | instskip(SKIP_1) | instid1(VALU_DEP_3)
	v_fmac_f32_e32 v21, -0.5, v82
	v_add_f32_e32 v82, v85, v90
	v_dual_add_f32 v85, v29, v44 :: v_dual_add_f32 v46, v79, v46
	s_delay_alu instid0(VALU_DEP_2) | instskip(NEXT) | instid1(VALU_DEP_4)
	v_fmac_f32_e32 v81, 0x3e9e377a, v82
	v_fmamk_f32 v84, v80, 0x3f737871, v21
	v_fmac_f32_e32 v21, 0xbf737871, v80
	s_delay_alu instid0(VALU_DEP_4) | instskip(SKIP_1) | instid1(VALU_DEP_4)
	v_add_f32_e32 v79, v85, v75
	v_dual_fmac_f32 v89, 0x3e9e377a, v82 :: v_dual_add_f32 v82, v44, v88
	v_fmac_f32_e32 v84, 0xbf167918, v87
	s_delay_alu instid0(VALU_DEP_4) | instskip(NEXT) | instid1(VALU_DEP_4)
	v_fmac_f32_e32 v21, 0x3f167918, v87
	v_add_f32_e32 v79, v79, v41
	v_dual_sub_f32 v85, v43, v40 :: v_dual_sub_f32 v86, v44, v75
	s_delay_alu instid0(VALU_DEP_4) | instskip(NEXT) | instid1(VALU_DEP_4)
	v_fmac_f32_e32 v84, 0x3e9e377a, v46
	v_dual_add_f32 v80, v75, v41 :: v_dual_fmac_f32 v21, 0x3e9e377a, v46
	s_delay_alu instid0(VALU_DEP_4) | instskip(SKIP_1) | instid1(VALU_DEP_3)
	v_dual_add_f32 v46, v79, v88 :: v_dual_sub_f32 v79, v74, v45
	v_sub_f32_e32 v87, v88, v41
	v_fma_f32 v80, -0.5, v80, v29
	v_fmac_f32_e32 v29, -0.5, v82
	v_add_f32_e32 v64, v128, v66
	v_sub_f32_e32 v44, v44, v88
	v_add_f32_e32 v86, v86, v87
	v_fmamk_f32 v82, v85, 0x3f737871, v80
	v_fmac_f32_e32 v80, 0xbf737871, v85
	v_fmamk_f32 v90, v79, 0xbf737871, v29
	v_fmac_f32_e32 v29, 0x3f737871, v79
	s_delay_alu instid0(VALU_DEP_4) | instskip(NEXT) | instid1(VALU_DEP_4)
	v_dual_add_f32 v87, v91, v92 :: v_dual_fmac_f32 v82, 0x3f167918, v79
	v_fmac_f32_e32 v80, 0xbf167918, v79
	s_delay_alu instid0(VALU_DEP_4) | instskip(SKIP_4) | instid1(VALU_DEP_4)
	v_fmac_f32_e32 v90, 0x3f167918, v85
	v_add_f32_e32 v79, v74, v45
	v_fmac_f32_e32 v29, 0xbf167918, v85
	v_dual_add_f32 v85, v43, v40 :: v_dual_fmac_f32 v82, 0x3e9e377a, v86
	v_fmac_f32_e32 v80, 0x3e9e377a, v86
	v_fma_f32 v79, -0.5, v79, v30
	v_dual_add_f32 v86, v30, v43 :: v_dual_sub_f32 v41, v75, v41
	s_delay_alu instid0(VALU_DEP_4)
	v_fmac_f32_e32 v30, -0.5, v85
	v_sub_f32_e32 v66, v128, v66
	v_fmac_f32_e32 v90, 0x3e9e377a, v87
	v_fmac_f32_e32 v29, 0x3e9e377a, v87
	v_fmamk_f32 v75, v44, 0xbf737871, v79
	v_sub_f32_e32 v85, v43, v74
	v_dual_sub_f32 v87, v40, v45 :: v_dual_fmamk_f32 v88, v41, 0x3f737871, v30
	v_sub_f32_e32 v43, v74, v43
	v_dual_sub_f32 v91, v45, v40 :: v_dual_fmac_f32 v30, 0xbf737871, v41
	v_fmac_f32_e32 v75, 0xbf167918, v41
	s_delay_alu instid0(VALU_DEP_4) | instskip(NEXT) | instid1(VALU_DEP_3)
	v_dual_add_f32 v85, v85, v87 :: v_dual_fmac_f32 v88, 0xbf167918, v44
	v_dual_add_f32 v43, v43, v91 :: v_dual_add_f32 v74, v86, v74
	s_delay_alu instid0(VALU_DEP_4) | instskip(SKIP_1) | instid1(VALU_DEP_3)
	v_fmac_f32_e32 v30, 0x3f167918, v44
	v_fmac_f32_e32 v79, 0x3f737871, v44
	v_dual_fmac_f32 v75, 0x3e9e377a, v85 :: v_dual_fmac_f32 v88, 0x3e9e377a, v43
	s_delay_alu instid0(VALU_DEP_4) | instskip(NEXT) | instid1(VALU_DEP_4)
	v_add_f32_e32 v44, v74, v45
	v_dual_fmac_f32 v30, 0x3e9e377a, v43 :: v_dual_mul_f32 v45, 0x3e9e377a, v29
	s_delay_alu instid0(VALU_DEP_4) | instskip(NEXT) | instid1(VALU_DEP_4)
	v_fmac_f32_e32 v79, 0x3f167918, v41
	v_mul_f32_e32 v41, 0x3f167918, v75
	v_mul_f32_e32 v43, 0x3f737871, v88
	v_add_f32_e32 v40, v44, v40
	v_fma_f32 v44, 0x3f737871, v30, -v45
	v_fmac_f32_e32 v79, 0x3e9e377a, v85
	v_fmac_f32_e32 v41, 0x3f4f1bbd, v82
	;; [unrolled: 1-line block ×3, first 2 shown]
	v_mul_f32_e32 v45, 0x3f4f1bbd, v80
	v_dual_add_f32 v87, v58, v44 :: v_dual_mul_f32 v82, 0xbf167918, v82
	v_mul_f32_e32 v90, 0xbf737871, v90
	v_mul_f32_e32 v30, 0x3e9e377a, v30
	v_sub_f32_e32 v44, v58, v44
	v_add_f32_e32 v58, v57, v27
	v_add_f32_e32 v85, v77, v41
	v_fma_f32 v45, 0x3f167918, v79, -v45
	v_mul_f32_e32 v79, 0x3f4f1bbd, v79
	v_fmac_f32_e32 v82, 0x3f4f1bbd, v75
	v_fmac_f32_e32 v90, 0x3e9e377a, v88
	v_fma_f32 v29, 0xbf737871, v29, -v30
	v_sub_f32_e32 v41, v77, v41
	v_add_f32_e32 v75, v78, v40
	v_sub_f32_e32 v77, v78, v40
	v_add_f32_e32 v40, v58, v15
	v_add_f32_e32 v86, v83, v43
	v_fma_f32 v30, 0xbf167918, v80, -v79
	v_add_f32_e32 v79, v81, v82
	v_dual_add_f32 v88, v21, v29 :: v_dual_sub_f32 v43, v83, v43
	v_dual_sub_f32 v78, v81, v82 :: v_dual_sub_f32 v83, v27, v15
	v_add_f32_e32 v80, v84, v90
	v_dual_sub_f32 v81, v84, v90 :: v_dual_add_f32 v90, v27, v31
	v_sub_f32_e32 v93, v21, v29
	v_add_f32_e32 v21, v40, v26
	v_add_f32_e32 v74, v42, v46
	v_sub_f32_e32 v42, v42, v46
	v_dual_add_f32 v46, v15, v26 :: v_dual_add_f32 v91, v76, v45
	v_dual_sub_f32 v45, v76, v45 :: v_dual_sub_f32 v82, v25, v16
	v_sub_f32_e32 v84, v31, v26
	s_delay_alu instid0(VALU_DEP_3) | instskip(SKIP_2) | instid1(VALU_DEP_4)
	v_fma_f32 v46, -0.5, v46, v57
	v_fmac_f32_e32 v57, -0.5, v90
	v_dual_add_f32 v21, v21, v31 :: v_dual_sub_f32 v76, v22, v28
	v_dual_add_f32 v92, v89, v30 :: v_dual_add_f32 v29, v83, v84
	s_delay_alu instid0(VALU_DEP_3) | instskip(NEXT) | instid1(VALU_DEP_3)
	v_dual_sub_f32 v83, v89, v30 :: v_dual_fmamk_f32 v30, v82, 0xbf737871, v57
	v_fmamk_f32 v58, v76, 0x3f737871, v46
	v_fmac_f32_e32 v46, 0xbf737871, v76
	v_sub_f32_e32 v40, v15, v27
	v_dual_sub_f32 v84, v26, v31 :: v_dual_add_f32 v89, v12, v22
	v_dual_add_f32 v90, v25, v16 :: v_dual_fmac_f32 v57, 0x3f737871, v82
	v_fmac_f32_e32 v58, 0x3f167918, v82
	v_fmac_f32_e32 v46, 0xbf167918, v82
	;; [unrolled: 1-line block ×3, first 2 shown]
	v_add_f32_e32 v40, v40, v84
	v_add_f32_e32 v82, v89, v25
	v_fma_f32 v84, -0.5, v90, v12
	v_sub_f32_e32 v27, v27, v31
	v_fmac_f32_e32 v57, 0xbf167918, v76
	v_add_f32_e32 v76, v22, v28
	v_fmac_f32_e32 v58, 0x3e9e377a, v29
	v_dual_fmac_f32 v46, 0x3e9e377a, v29 :: v_dual_add_f32 v29, v82, v16
	v_fmamk_f32 v31, v27, 0xbf737871, v84
	v_dual_sub_f32 v15, v15, v26 :: v_dual_sub_f32 v26, v22, v25
	v_sub_f32_e32 v82, v28, v16
	v_fmac_f32_e32 v12, -0.5, v76
	v_fmac_f32_e32 v84, 0x3f737871, v27
	v_sub_f32_e32 v22, v25, v22
	v_sub_f32_e32 v16, v16, v28
	v_fmac_f32_e32 v30, 0x3e9e377a, v40
	v_fmac_f32_e32 v57, 0x3e9e377a, v40
	v_dual_fmac_f32 v31, 0xbf167918, v15 :: v_dual_add_f32 v26, v26, v82
	v_dual_fmamk_f32 v40, v15, 0x3f737871, v12 :: v_dual_add_f32 v25, v17, v20
	v_fmac_f32_e32 v84, 0x3f167918, v15
	v_add_f32_e32 v16, v22, v16
	v_fmac_f32_e32 v12, 0xbf737871, v15
	v_dual_add_f32 v22, v7, v8 :: v_dual_fmac_f32 v31, 0x3e9e377a, v26
	v_fmac_f32_e32 v40, 0xbf167918, v27
	v_dual_add_f32 v15, v25, v7 :: v_dual_fmac_f32 v84, 0x3e9e377a, v26
	s_delay_alu instid0(VALU_DEP_4) | instskip(NEXT) | instid1(VALU_DEP_4)
	v_fmac_f32_e32 v12, 0x3f167918, v27
	v_fma_f32 v22, -0.5, v22, v17
	v_dual_add_f32 v25, v20, v14 :: v_dual_sub_f32 v26, v19, v13
	v_fmac_f32_e32 v40, 0x3e9e377a, v16
	s_delay_alu instid0(VALU_DEP_4) | instskip(SKIP_1) | instid1(VALU_DEP_4)
	v_fmac_f32_e32 v12, 0x3e9e377a, v16
	v_sub_f32_e32 v16, v6, v5
	v_fmac_f32_e32 v17, -0.5, v25
	v_fmamk_f32 v25, v26, 0x3f737871, v22
	v_dual_fmac_f32 v22, 0xbf737871, v26 :: v_dual_add_f32 v29, v29, v28
	v_add_f32_e32 v15, v15, v8
	v_dual_sub_f32 v27, v20, v7 :: v_dual_sub_f32 v28, v14, v8
	v_fmamk_f32 v76, v16, 0xbf737871, v17
	v_fmac_f32_e32 v25, 0x3f167918, v16
	v_fmac_f32_e32 v22, 0xbf167918, v16
	v_dual_fmac_f32 v17, 0x3f737871, v16 :: v_dual_add_f32 v16, v6, v5
	v_add_f32_e32 v15, v15, v14
	v_dual_sub_f32 v82, v7, v20 :: v_dual_sub_f32 v89, v8, v14
	v_dual_add_f32 v27, v27, v28 :: v_dual_fmac_f32 v76, 0x3f167918, v26
	s_delay_alu instid0(VALU_DEP_4) | instskip(SKIP_2) | instid1(VALU_DEP_4)
	v_dual_fmac_f32 v17, 0xbf167918, v26 :: v_dual_add_f32 v26, v19, v13
	v_fma_f32 v16, -0.5, v16, v18
	v_sub_f32_e32 v14, v20, v14
	v_dual_add_f32 v28, v82, v89 :: v_dual_fmac_f32 v25, 0x3e9e377a, v27
	v_fmac_f32_e32 v22, 0x3e9e377a, v27
	v_dual_add_f32 v20, v18, v19 :: v_dual_sub_f32 v7, v7, v8
	v_fmac_f32_e32 v18, -0.5, v26
	v_fmamk_f32 v8, v14, 0xbf737871, v16
	v_dual_sub_f32 v26, v19, v6 :: v_dual_sub_f32 v27, v13, v5
	v_fmac_f32_e32 v76, 0x3e9e377a, v28
	v_fmac_f32_e32 v17, 0x3e9e377a, v28
	v_dual_fmamk_f32 v28, v7, 0x3f737871, v18 :: v_dual_sub_f32 v19, v6, v19
	v_sub_f32_e32 v82, v5, v13
	v_fmac_f32_e32 v8, 0xbf167918, v7
	v_add_f32_e32 v26, v26, v27
	v_fmac_f32_e32 v18, 0xbf737871, v7
	v_add_f32_e32 v6, v20, v6
	v_add_f32_e32 v19, v19, v82
	v_fmac_f32_e32 v28, 0xbf167918, v14
	v_fmac_f32_e32 v8, 0x3e9e377a, v26
	;; [unrolled: 1-line block ×3, first 2 shown]
	v_dual_fmac_f32 v16, 0x3f737871, v14 :: v_dual_add_f32 v5, v6, v5
	v_mul_f32_e32 v14, 0x3e9e377a, v17
	s_delay_alu instid0(VALU_DEP_4) | instskip(NEXT) | instid1(VALU_DEP_4)
	v_mul_f32_e32 v6, 0x3f167918, v8
	v_fmac_f32_e32 v18, 0x3e9e377a, v19
	s_delay_alu instid0(VALU_DEP_4) | instskip(SKIP_1) | instid1(VALU_DEP_4)
	v_dual_fmac_f32 v28, 0x3e9e377a, v19 :: v_dual_add_f32 v5, v5, v13
	v_fmac_f32_e32 v16, 0x3f167918, v7
	v_fmac_f32_e32 v6, 0x3f4f1bbd, v25
	s_delay_alu instid0(VALU_DEP_4) | instskip(SKIP_3) | instid1(VALU_DEP_4)
	v_fma_f32 v13, 0x3f737871, v18, -v14
	v_mul_f32_e32 v25, 0xbf167918, v25
	v_dual_mul_f32 v18, 0x3e9e377a, v18 :: v_dual_add_f32 v89, v29, v5
	v_mul_f32_e32 v7, 0x3f737871, v28
	v_add_f32_e32 v27, v57, v13
	s_delay_alu instid0(VALU_DEP_4) | instskip(NEXT) | instid1(VALU_DEP_4)
	v_fmac_f32_e32 v25, 0x3f4f1bbd, v8
	v_fma_f32 v8, 0xbf737871, v17, -v18
	v_and_b32_e32 v17, 0xffff, v54
	v_sub_f32_e32 v13, v57, v13
	v_dual_sub_f32 v57, v29, v5 :: v_dual_fmac_f32 v16, 0x3e9e377a, v26
	s_delay_alu instid0(VALU_DEP_4)
	v_add_f32_e32 v95, v12, v8
	v_sub_f32_e32 v98, v12, v8
	v_mul_u32_u24_e32 v5, 0x190, v17
	v_lshlrev_b32_e32 v8, 2, v56
	v_and_b32_e32 v12, 0xffff, v55
	v_mul_f32_e32 v14, 0x3f4f1bbd, v22
	v_add_f32_e32 v20, v58, v6
	v_sub_f32_e32 v6, v58, v6
	v_add3_u32 v5, 0, v5, v8
	v_mul_u32_u24_e32 v8, 0x190, v12
	v_fmac_f32_e32 v7, 0x3e9e377a, v76
	v_fma_f32 v14, 0x3f167918, v16, -v14
	v_add_f32_e32 v19, v21, v15
	ds_store_2addr_b32 v5, v23, v24 offset1:10
	ds_store_2addr_b32 v5, v32, v33 offset0:20 offset1:30
	v_add3_u32 v58, 0, v8, v10
	v_mul_u32_u24_e32 v8, 0x190, v9
	v_lshlrev_b32_e32 v9, 2, v11
	ds_store_2addr_b32 v5, v34, v35 offset0:40 offset1:50
	ds_store_2addr_b32 v5, v36, v37 offset0:60 offset1:70
	;; [unrolled: 1-line block ×3, first 2 shown]
	ds_store_2addr_b32 v58, v74, v85 offset1:10
	v_add_f32_e32 v26, v30, v7
	v_dual_add_f32 v82, v46, v14 :: v_dual_sub_f32 v15, v21, v15
	v_add3_u32 v74, 0, v8, v9
	v_sub_f32_e32 v7, v30, v7
	v_sub_f32_e32 v14, v46, v14
	ds_store_2addr_b32 v58, v86, v87 offset0:20 offset1:30
	ds_store_2addr_b32 v58, v91, v42 offset0:40 offset1:50
	;; [unrolled: 1-line block ×4, first 2 shown]
	ds_store_2addr_b32 v74, v19, v20 offset1:10
	ds_store_2addr_b32 v74, v26, v27 offset0:20 offset1:30
	ds_store_2addr_b32 v74, v82, v15 offset0:40 offset1:50
	;; [unrolled: 1-line block ×4, first 2 shown]
	v_add_nc_u32_e32 v6, 0xffffff9c, v67
	v_mul_f32_e32 v76, 0xbf737871, v76
	v_mul_f32_e32 v16, 0x3f4f1bbd, v16
	v_add_nc_u32_e32 v36, 0x2200, v48
	v_add_nc_u32_e32 v35, 0x2e00, v48
	s_wait_alu 0xf1ff
	v_cndmask_b32_e64 v56, v6, v67, s0
	v_mul_lo_u16 v6, v53, 41
	v_lshrrev_b16 v53, 2, v71
	v_fmac_f32_e32 v76, 0x3e9e377a, v28
	v_fma_f32 v16, 0xbf167918, v22, -v16
	v_add_nc_u32_e32 v37, 0xc00, v48
	v_add_nc_u32_e32 v38, 0x1e00, v48
	;; [unrolled: 1-line block ×3, first 2 shown]
	v_and_b32_e32 v53, 0xffff, v53
	v_add_f32_e32 v90, v31, v25
	v_dual_add_f32 v94, v40, v76 :: v_dual_sub_f32 v97, v31, v25
	v_sub_f32_e32 v76, v40, v76
	v_add_nc_u32_e32 v33, 0x800, v48
	v_add_nc_u32_e32 v31, 0x1400, v48
	;; [unrolled: 1-line block ×6, first 2 shown]
	v_add_f32_e32 v96, v84, v16
	v_sub_f32_e32 v84, v84, v16
	global_wb scope:SCOPE_SE
	s_wait_dscnt 0x0
	s_barrier_signal -1
	s_barrier_wait -1
	global_inv scope:SCOPE_SE
	ds_load_b32 v54, v48
	ds_load_2addr_b32 v[23:24], v33 offset0:88 offset1:208
	ds_load_2addr_b32 v[21:22], v34 offset0:56 offset1:176
	;; [unrolled: 1-line block ×9, first 2 shown]
	v_lshl_add_u32 v41, v70, 2, 0
	ds_load_2addr_b32 v[7:8], v39 offset0:40 offset1:160
	ds_load_2addr_b32 v[27:28], v40 offset0:24 offset1:144
	;; [unrolled: 1-line block ×3, first 2 shown]
	ds_load_b32 v45, v52
	ds_load_b32 v46, v51
	;; [unrolled: 1-line block ×4, first 2 shown]
	ds_load_b32 v55, v48 offset:13920
	global_wb scope:SCOPE_SE
	s_wait_dscnt 0x0
	s_barrier_signal -1
	s_barrier_wait -1
	global_inv scope:SCOPE_SE
	ds_store_2addr_b32 v5, v61, v62 offset1:10
	ds_store_2addr_b32 v5, v63, v64 offset0:20 offset1:30
	ds_store_2addr_b32 v5, v65, v73 offset0:40 offset1:50
	ds_store_2addr_b32 v5, v59, v60 offset0:60 offset1:70
	ds_store_2addr_b32 v5, v66, v72 offset0:80 offset1:90
	ds_store_2addr_b32 v58, v75, v79 offset1:10
	ds_store_2addr_b32 v58, v80, v88 offset0:20 offset1:30
	ds_store_2addr_b32 v58, v92, v77 offset0:40 offset1:50
	;; [unrolled: 1-line block ×4, first 2 shown]
	ds_store_2addr_b32 v74, v89, v90 offset1:10
	v_mul_i32_i24_e32 v5, 5, v56
	v_lshrrev_b16 v58, 12, v6
	v_mov_b32_e32 v6, 0
	v_mul_u32_u24_e32 v53, 0x147b, v53
	ds_store_2addr_b32 v74, v94, v95 offset0:20 offset1:30
	ds_store_2addr_b32 v74, v96, v57 offset0:40 offset1:50
	;; [unrolled: 1-line block ×3, first 2 shown]
	v_mul_lo_u16 v57, 0x64, v58
	v_lshlrev_b64_e32 v[59:60], 3, v[5:6]
	v_lshrrev_b32_e32 v5, 17, v53
	v_lshrrev_b16 v53, 2, v68
	ds_store_2addr_b32 v74, v98, v84 offset0:80 offset1:90
	v_sub_nc_u16 v57, v69, v57
	global_wb scope:SCOPE_SE
	s_wait_dscnt 0x0
	v_add_co_u32 v64, s0, s8, v59
	v_and_b32_e32 v53, 0xffff, v53
	v_and_b32_e32 v80, 0xff, v57
	v_mul_lo_u16 v57, 0x64, v5
	v_lshrrev_b16 v59, 2, v70
	s_wait_alu 0xf1ff
	v_add_co_ci_u32_e64 v65, s0, s9, v60, s0
	v_mul_u32_u24_e32 v53, 0x147b, v53
	v_sub_nc_u16 v57, v71, v57
	v_and_b32_e32 v66, 0xffff, v59
	s_barrier_signal -1
	s_barrier_wait -1
	v_lshrrev_b32_e32 v63, 17, v53
	v_mul_u32_u24_e32 v53, 5, v80
	v_and_b32_e32 v85, 0xffff, v57
	v_mul_u32_u24_e32 v57, 0x147b, v66
	global_inv scope:SCOPE_SE
	v_mul_lo_u16 v66, 0x64, v63
	v_lshlrev_b32_e32 v72, 3, v53
	v_mul_u32_u24_e32 v73, 5, v85
	v_lshrrev_b32_e32 v53, 17, v57
	global_load_b128 v[59:62], v[64:65], off offset:720
	v_sub_nc_u16 v57, v68, v66
	global_load_b128 v[86:89], v72, s[8:9] offset:720
	v_lshlrev_b32_e32 v66, 3, v73
	v_mul_lo_u16 v73, 0x64, v53
	v_cmp_lt_u32_e64 s0, 0x63, v67
	v_and_b32_e32 v74, 0xffff, v57
	v_lshlrev_b32_e32 v80, 2, v80
	global_load_b128 v[90:93], v66, s[8:9] offset:720
	v_sub_nc_u16 v57, v70, v73
	v_mul_u32_u24_e32 v5, 0x960, v5
	v_mul_u32_u24_e32 v73, 5, v74
	s_delay_alu instid0(VALU_DEP_3) | instskip(NEXT) | instid1(VALU_DEP_2)
	v_and_b32_e32 v57, 0xffff, v57
	v_lshlrev_b32_e32 v73, 3, v73
	s_delay_alu instid0(VALU_DEP_2)
	v_mul_u32_u24_e32 v75, 5, v57
	global_load_b128 v[98:101], v73, s[8:9] offset:720
	v_lshlrev_b32_e32 v75, 3, v75
	s_clause 0xa
	global_load_b128 v[102:105], v75, s[8:9] offset:720
	global_load_b128 v[106:109], v[64:65], off offset:736
	global_load_b128 v[110:113], v72, s[8:9] offset:736
	global_load_b128 v[114:117], v66, s[8:9] offset:736
	;; [unrolled: 1-line block ×4, first 2 shown]
	global_load_b64 v[95:96], v[64:65], off offset:752
	global_load_b64 v[126:127], v72, s[8:9] offset:752
	global_load_b64 v[128:129], v66, s[8:9] offset:752
	global_load_b64 v[130:131], v73, s[8:9] offset:752
	global_load_b64 v[132:133], v75, s[8:9] offset:752
	ds_load_2addr_b32 v[64:65], v33 offset0:88 offset1:208
	ds_load_2addr_b32 v[134:135], v34 offset0:56 offset1:176
	;; [unrolled: 1-line block ×5, first 2 shown]
	s_wait_loadcnt_dscnt 0xe04
	v_mul_f32_e32 v66, v64, v60
	v_mul_f32_e32 v84, v23, v60
	s_wait_dscnt 0x3
	v_mul_f32_e32 v60, v135, v62
	v_mul_f32_e32 v97, v22, v62
	s_wait_loadcnt 0xd
	v_mul_f32_e32 v81, v29, v89
	v_fma_f32 v83, v23, v59, -v66
	v_mul_f32_e32 v23, v65, v87
	v_fma_f32 v22, v22, v61, -v60
	s_wait_loadcnt 0xc
	v_dual_mul_f32 v76, v30, v93 :: v_dual_mul_f32 v75, v25, v91
	v_fmac_f32_e32 v97, v135, v61
	v_fma_f32 v77, v24, v86, -v23
	s_wait_dscnt 0x2
	v_mul_f32_e32 v23, v73, v93
	v_mul_f32_e32 v79, v24, v87
	v_fmac_f32_e32 v81, v72, v88
	s_wait_dscnt 0x1
	v_fmac_f32_e32 v75, v136, v90
	v_fma_f32 v78, v30, v92, -v23
	ds_load_2addr_b32 v[23:24], v50 offset0:8 offset1:128
	s_wait_loadcnt 0xa
	v_mul_f32_e32 v60, v21, v103
	v_dual_fmac_f32 v79, v65, v86 :: v_dual_mul_f32 v62, v26, v99
	v_mul_f32_e32 v65, v28, v105
	s_wait_loadcnt 0x8
	s_delay_alu instid0(VALU_DEP_3) | instskip(NEXT) | instid1(VALU_DEP_3)
	v_dual_mul_f32 v93, v19, v113 :: v_dual_fmac_f32 v60, v134, v102
	v_fmac_f32_e32 v62, v137, v98
	v_fmac_f32_e32 v84, v64, v59
	v_mul_f32_e32 v59, v72, v89
	s_wait_loadcnt 0x7
	v_mul_f32_e32 v89, v20, v117
	s_wait_dscnt 0x1
	v_fmac_f32_e32 v65, v139, v104
	v_fma_f32 v82, v29, v88, -v59
	v_mul_f32_e32 v29, v136, v91
	s_wait_dscnt 0x0
	v_dual_mul_f32 v59, v138, v101 :: v_dual_mul_f32 v86, v23, v107
	s_delay_alu instid0(VALU_DEP_2) | instskip(SKIP_3) | instid1(VALU_DEP_2)
	v_fma_f32 v66, v25, v90, -v29
	ds_load_2addr_b32 v[29:30], v36 offset0:104 offset1:224
	v_mul_f32_e32 v25, v137, v99
	v_fma_f32 v72, v27, v100, -v59
	v_fma_f32 v61, v26, v98, -v25
	ds_load_2addr_b32 v[98:99], v42 offset0:72 offset1:192
	v_dual_fmac_f32 v76, v73, v92 :: v_dual_mul_f32 v73, v27, v101
	v_mul_f32_e32 v27, v134, v103
	ds_load_2addr_b32 v[25:26], v32 offset0:88 offset1:208
	v_fma_f32 v101, v15, v106, -v86
	s_wait_loadcnt 0x1
	v_dual_mul_f32 v92, v8, v131 :: v_dual_fmac_f32 v73, v138, v100
	v_fma_f32 v59, v21, v102, -v27
	v_dual_mul_f32 v21, v12, v109 :: v_dual_mul_f32 v100, v15, v107
	v_mul_f32_e32 v15, v24, v111
	s_wait_dscnt 0x2
	v_mul_f32_e32 v87, v30, v109
	s_delay_alu instid0(VALU_DEP_3) | instskip(SKIP_2) | instid1(VALU_DEP_4)
	v_dual_fmac_f32 v21, v30, v108 :: v_dual_fmac_f32 v100, v23, v106
	v_mul_f32_e32 v30, v16, v111
	v_fma_f32 v102, v16, v110, -v15
	v_fma_f32 v12, v12, v108, -v87
	v_dual_mul_f32 v87, v13, v121 :: v_dual_mul_f32 v16, v18, v119
	s_wait_dscnt 0x1
	s_delay_alu instid0(VALU_DEP_1)
	v_dual_fmac_f32 v87, v98, v120 :: v_dual_mul_f32 v64, v139, v105
	s_wait_dscnt 0x0
	v_mul_f32_e32 v23, v25, v113
	v_fmac_f32_e32 v93, v25, v112
	v_fmac_f32_e32 v89, v26, v116
	v_fma_f32 v64, v28, v104, -v64
	ds_load_2addr_b32 v[27:28], v38 offset0:120 offset1:240
	v_fmac_f32_e32 v30, v24, v110
	v_fma_f32 v94, v19, v112, -v23
	ds_load_2addr_b32 v[23:24], v35 offset0:56 offset1:176
	v_dual_mul_f32 v86, v26, v117 :: v_dual_mul_f32 v19, v17, v115
	v_dual_add_f32 v107, v79, v30 :: v_dual_sub_f32 v108, v81, v93
	s_delay_alu instid0(VALU_DEP_2) | instskip(SKIP_1) | instid1(VALU_DEP_1)
	v_fma_f32 v90, v20, v116, -v86
	v_mul_f32_e32 v86, v14, v125
	v_fmac_f32_e32 v86, v99, v124
	s_wait_dscnt 0x1
	v_mul_f32_e32 v15, v27, v115
	v_mul_f32_e32 v25, v28, v119
	v_fmac_f32_e32 v19, v27, v114
	v_dual_mul_f32 v27, v29, v123 :: v_dual_fmac_f32 v16, v28, v118
	s_delay_alu instid0(VALU_DEP_4) | instskip(NEXT) | instid1(VALU_DEP_4)
	v_fma_f32 v20, v17, v114, -v15
	v_fma_f32 v17, v18, v118, -v25
	ds_load_2addr_b32 v[25:26], v39 offset0:40 offset1:160
	v_mul_f32_e32 v15, v11, v123
	s_wait_dscnt 0x1
	v_mul_f32_e32 v28, v23, v96
	v_add_f32_e32 v113, v62, v16
	s_delay_alu instid0(VALU_DEP_3) | instskip(SKIP_3) | instid1(VALU_DEP_3)
	v_dual_fmac_f32 v15, v29, v122 :: v_dual_mul_f32 v18, v98, v121
	v_dual_mul_f32 v98, v10, v127 :: v_dual_lshlrev_b32 v29, 2, v56
	s_wait_loadcnt 0x0
	v_dual_sub_f32 v121, v22, v12 :: v_dual_mul_f32 v106, v55, v133
	v_fma_f32 v91, v13, v120, -v18
	v_fma_f32 v13, v11, v122, -v27
	ds_load_b32 v27, v48 offset:13920
	v_dual_mul_f32 v18, v99, v125 :: v_dual_mul_f32 v11, v9, v96
	v_fma_f32 v9, v9, v95, -v28
	v_fmac_f32_e32 v98, v24, v126
	v_add_f32_e32 v28, v54, v22
	s_delay_alu instid0(VALU_DEP_4)
	v_fma_f32 v88, v14, v124, -v18
	v_mul_f32_e32 v14, v24, v127
	v_fmac_f32_e32 v11, v23, v95
	s_wait_dscnt 0x1
	v_dual_mul_f32 v18, v26, v131 :: v_dual_add_f32 v23, v101, v9
	ds_load_b32 v95, v52
	ds_load_b32 v99, v51
	;; [unrolled: 1-line block ×5, first 2 shown]
	v_fma_f32 v10, v10, v126, -v14
	v_mul_f32_e32 v14, v25, v129
	v_fma_f32 v8, v8, v130, -v18
	v_fmac_f32_e32 v92, v26, v130
	v_add_f32_e32 v18, v100, v11
	v_dual_add_f32 v26, v83, v101 :: v_dual_fmac_f32 v83, -0.5, v23
	v_dual_sub_f32 v23, v100, v11 :: v_dual_mul_f32 v96, v7, v129
	v_fma_f32 v7, v7, v128, -v14
	s_wait_dscnt 0x5
	v_mul_f32_e32 v14, v27, v133
	v_add_f32_e32 v24, v84, v100
	v_fmac_f32_e32 v84, -0.5, v18
	v_sub_f32_e32 v18, v101, v9
	v_fmamk_f32 v56, v23, 0x3f5db3d7, v83
	v_dual_fmac_f32 v83, 0xbf5db3d7, v23 :: v_dual_fmac_f32 v106, v27, v132
	v_fmac_f32_e32 v96, v25, v128
	s_delay_alu instid0(VALU_DEP_4) | instskip(SKIP_1) | instid1(VALU_DEP_4)
	v_fmamk_f32 v27, v18, 0xbf5db3d7, v84
	v_fmac_f32_e32 v84, 0x3f5db3d7, v18
	v_dual_mul_f32 v18, -0.5, v83 :: v_dual_add_f32 v25, v22, v12
	s_delay_alu instid0(VALU_DEP_3) | instskip(SKIP_1) | instid1(VALU_DEP_3)
	v_dual_add_f32 v9, v26, v9 :: v_dual_mul_f32 v100, 0x3f5db3d7, v27
	v_fma_f32 v14, v55, v132, -v14
	v_fmac_f32_e32 v18, 0x3f5db3d7, v84
	v_mul_f32_e32 v84, -0.5, v84
	v_fmac_f32_e32 v54, -0.5, v25
	v_sub_f32_e32 v25, v97, v21
	s_wait_alu 0xf1ff
	v_cndmask_b32_e64 v55, 0, 0x960, s0
	global_wb scope:SCOPE_SE
	s_wait_dscnt 0x0
	v_dual_fmac_f32 v84, 0xbf5db3d7, v83 :: v_dual_add_f32 v83, v81, v93
	v_dual_add_f32 v26, v28, v12 :: v_dual_fmamk_f32 v23, v25, 0x3f5db3d7, v54
	v_add_f32_e32 v81, v99, v81
	v_add3_u32 v55, 0, v55, v29
	s_delay_alu instid0(VALU_DEP_4) | instskip(NEXT) | instid1(VALU_DEP_4)
	v_dual_fmac_f32 v99, -0.5, v83 :: v_dual_fmac_f32 v100, 0.5, v56
	v_add_f32_e32 v28, v26, v9
	v_sub_f32_e32 v9, v26, v9
	v_add_f32_e32 v26, v30, v98
	s_barrier_signal -1
	v_add_f32_e32 v29, v23, v100
	v_dual_sub_f32 v23, v23, v100 :: v_dual_add_f32 v100, v102, v10
	s_delay_alu instid0(VALU_DEP_3)
	v_fmac_f32_e32 v79, -0.5, v26
	v_sub_f32_e32 v26, v102, v10
	s_barrier_wait -1
	global_inv scope:SCOPE_SE
	ds_store_2addr_b32 v55, v28, v29 offset1:100
	v_add_f32_e32 v28, v82, v94
	v_dual_add_f32 v102, v77, v102 :: v_dual_fmac_f32 v77, -0.5, v100
	v_and_b32_e32 v58, 0xffff, v58
	v_sub_f32_e32 v30, v30, v98
	v_fmamk_f32 v100, v26, 0xbf5db3d7, v79
	v_dual_add_f32 v29, v46, v82 :: v_dual_fmac_f32 v46, -0.5, v28
	v_add_f32_e32 v10, v102, v10
	v_mul_u32_u24_e32 v28, 0x960, v58
	v_fmamk_f32 v58, v30, 0x3f5db3d7, v77
	v_mul_f32_e32 v102, 0x3f5db3d7, v100
	v_dual_fmac_f32 v54, 0xbf5db3d7, v25 :: v_dual_fmac_f32 v77, 0xbf5db3d7, v30
	v_dual_add_f32 v29, v29, v94 :: v_dual_fmamk_f32 v30, v108, 0x3f5db3d7, v46
	s_delay_alu instid0(VALU_DEP_3) | instskip(NEXT) | instid1(VALU_DEP_3)
	v_fmac_f32_e32 v102, 0.5, v58
	v_add_f32_e32 v25, v54, v18
	v_dual_sub_f32 v18, v54, v18 :: v_dual_add_nc_u32 v101, 0x200, v55
	v_add_nc_u32_e32 v54, 0x400, v55
	v_add3_u32 v80, 0, v28, v80
	v_add_f32_e32 v28, v29, v10
	v_add_f32_e32 v109, v30, v102
	ds_store_2addr_b32 v101, v25, v9 offset0:72 offset1:172
	ds_store_2addr_b32 v54, v23, v18 offset0:144 offset1:244
	ds_store_2addr_b32 v80, v28, v109 offset1:100
	v_dual_add_f32 v25, v19, v96 :: v_dual_add_f32 v28, v20, v7
	v_add_f32_e32 v109, v75, v19
	v_sub_f32_e32 v19, v19, v96
	v_fmac_f32_e32 v79, 0x3f5db3d7, v26
	s_delay_alu instid0(VALU_DEP_4) | instskip(SKIP_3) | instid1(VALU_DEP_3)
	v_fmac_f32_e32 v75, -0.5, v25
	v_dual_sub_f32 v25, v20, v7 :: v_dual_add_f32 v20, v66, v20
	v_fmac_f32_e32 v66, -0.5, v28
	v_dual_mul_f32 v26, -0.5, v77 :: v_dual_sub_f32 v9, v29, v10
	v_fmamk_f32 v110, v25, 0xbf5db3d7, v75
	v_fmac_f32_e32 v75, 0x3f5db3d7, v25
	s_delay_alu instid0(VALU_DEP_4) | instskip(SKIP_3) | instid1(VALU_DEP_3)
	v_fmamk_f32 v111, v19, 0x3f5db3d7, v66
	v_fmac_f32_e32 v66, 0xbf5db3d7, v19
	v_dual_fmac_f32 v26, 0x3f5db3d7, v79 :: v_dual_add_f32 v29, v45, v78
	v_dual_add_f32 v7, v20, v7 :: v_dual_mul_f32 v20, 0x3f5db3d7, v110
	v_dual_mul_f32 v25, -0.5, v66 :: v_dual_lshlrev_b32 v28, 2, v85
	s_delay_alu instid0(VALU_DEP_3) | instskip(SKIP_1) | instid1(VALU_DEP_4)
	v_add_f32_e32 v19, v29, v90
	v_sub_f32_e32 v18, v30, v102
	v_fmac_f32_e32 v20, 0.5, v111
	s_delay_alu instid0(VALU_DEP_4) | instskip(SKIP_4) | instid1(VALU_DEP_4)
	v_fmac_f32_e32 v25, 0x3f5db3d7, v75
	v_dual_mul_f32 v75, -0.5, v75 :: v_dual_add_nc_u32 v102, 0x400, v80
	v_add3_u32 v5, 0, v5, v28
	v_add_f32_e32 v28, v19, v7
	v_sub_f32_e32 v7, v19, v7
	v_dual_fmac_f32 v75, 0xbf5db3d7, v66 :: v_dual_fmac_f32 v46, 0xbf5db3d7, v108
	v_dual_add_f32 v19, v72, v91 :: v_dual_add_nc_u32 v108, 0x200, v80
	v_add_nc_u32_e32 v85, 0x200, v5
	v_add_nc_u32_e32 v112, 0x400, v5
	s_delay_alu instid0(VALU_DEP_4)
	v_add_f32_e32 v10, v46, v26
	v_sub_f32_e32 v23, v46, v26
	v_add_f32_e32 v26, v78, v90
	v_mul_f32_e32 v56, 0xbf5db3d7, v56
	v_add_f32_e32 v122, v24, v11
	v_sub_f32_e32 v82, v82, v94
	v_sub_f32_e32 v78, v78, v90
	v_dual_fmac_f32 v45, -0.5, v26 :: v_dual_sub_f32 v26, v76, v89
	s_delay_alu instid0(VALU_DEP_1) | instskip(SKIP_1) | instid1(VALU_DEP_2)
	v_dual_fmac_f32 v56, 0.5, v27 :: v_dual_fmamk_f32 v29, v26, 0x3f5db3d7, v45
	v_dual_fmac_f32 v45, 0xbf5db3d7, v26 :: v_dual_add_f32 v26, v61, v17
	v_add_f32_e32 v30, v29, v20
	ds_store_2addr_b32 v108, v10, v9 offset0:72 offset1:172
	ds_store_2addr_b32 v102, v18, v23 offset0:144 offset1:244
	ds_store_2addr_b32 v5, v28, v30 offset1:100
	v_add_f32_e32 v9, v45, v25
	v_sub_f32_e32 v18, v45, v25
	v_add_f32_e32 v25, v17, v8
	v_sub_f32_e32 v10, v29, v20
	;; [unrolled: 2-line block ×3, first 2 shown]
	v_add_f32_e32 v23, v44, v72
	v_fmac_f32_e32 v61, -0.5, v25
	v_dual_sub_f32 v17, v17, v8 :: v_dual_fmac_f32 v44, -0.5, v19
	v_mul_u32_u24_e32 v19, 0x960, v63
	v_sub_f32_e32 v25, v73, v87
	s_delay_alu instid0(VALU_DEP_4)
	v_fmamk_f32 v63, v16, 0x3f5db3d7, v61
	v_fmac_f32_e32 v61, 0xbf5db3d7, v16
	v_fmac_f32_e32 v62, -0.5, v20
	v_lshlrev_b32_e32 v16, 2, v74
	v_dual_add_f32 v8, v26, v8 :: v_dual_add_f32 v23, v23, v91
	v_fmamk_f32 v26, v25, 0x3f5db3d7, v44
	s_delay_alu instid0(VALU_DEP_4)
	v_fmamk_f32 v114, v17, 0xbf5db3d7, v62
	v_fmac_f32_e32 v62, 0x3f5db3d7, v17
	v_mul_f32_e32 v17, -0.5, v61
	v_fmac_f32_e32 v44, 0xbf5db3d7, v25
	v_add3_u32 v74, 0, v19, v16
	v_mul_f32_e32 v20, 0x3f5db3d7, v114
	s_delay_alu instid0(VALU_DEP_4) | instskip(NEXT) | instid1(VALU_DEP_3)
	v_dual_add_f32 v16, v23, v8 :: v_dual_fmac_f32 v17, 0x3f5db3d7, v62
	v_dual_sub_f32 v8, v23, v8 :: v_dual_add_nc_u32 v115, 0x200, v74
	s_delay_alu instid0(VALU_DEP_3) | instskip(NEXT) | instid1(VALU_DEP_3)
	v_fmac_f32_e32 v20, 0.5, v63
	v_dual_add_f32 v23, v44, v17 :: v_dual_add_nc_u32 v116, 0x400, v74
	v_sub_f32_e32 v17, v44, v17
	v_add_f32_e32 v117, v60, v15
	s_delay_alu instid0(VALU_DEP_4)
	v_add_f32_e32 v19, v26, v20
	v_sub_f32_e32 v20, v26, v20
	ds_store_2addr_b32 v85, v9, v7 offset0:72 offset1:172
	ds_store_2addr_b32 v112, v10, v18 offset0:144 offset1:244
	ds_store_2addr_b32 v74, v16, v19 offset1:100
	ds_store_2addr_b32 v115, v23, v8 offset0:72 offset1:172
	ds_store_2addr_b32 v116, v20, v17 offset0:144 offset1:244
	v_add_f32_e32 v8, v15, v106
	v_dual_add_f32 v10, v13, v14 :: v_dual_add_f32 v7, v64, v88
	v_add_f32_e32 v16, v59, v13
	v_add_f32_e32 v9, v43, v64
	s_delay_alu instid0(VALU_DEP_4) | instskip(SKIP_4) | instid1(VALU_DEP_4)
	v_fmac_f32_e32 v60, -0.5, v8
	v_sub_f32_e32 v8, v13, v14
	v_fmac_f32_e32 v59, -0.5, v10
	v_dual_sub_f32 v10, v15, v106 :: v_dual_fmac_f32 v43, -0.5, v7
	v_add_f32_e32 v7, v16, v14
	v_fmamk_f32 v118, v8, 0xbf5db3d7, v60
	v_mul_u32_u24_e32 v13, 0x960, v53
	s_delay_alu instid0(VALU_DEP_4) | instskip(SKIP_4) | instid1(VALU_DEP_4)
	v_fmamk_f32 v53, v10, 0x3f5db3d7, v59
	v_sub_f32_e32 v15, v65, v86
	v_fmac_f32_e32 v59, 0xbf5db3d7, v10
	v_mul_f32_e32 v14, 0x3f5db3d7, v118
	v_dual_add_f32 v9, v9, v88 :: v_dual_lshlrev_b32 v10, 2, v57
	v_fmamk_f32 v16, v15, 0x3f5db3d7, v43
	v_fmac_f32_e32 v60, 0x3f5db3d7, v8
	s_delay_alu instid0(VALU_DEP_4) | instskip(NEXT) | instid1(VALU_DEP_4)
	v_fmac_f32_e32 v14, 0.5, v53
	v_add3_u32 v57, 0, v13, v10
	v_add_f32_e32 v10, v9, v7
	v_mul_f32_e32 v8, -0.5, v59
	v_fmac_f32_e32 v43, 0xbf5db3d7, v15
	v_add_f32_e32 v13, v16, v14
	v_sub_f32_e32 v7, v9, v7
	v_add_nc_u32_e32 v119, 0x200, v57
	v_fmac_f32_e32 v8, 0x3f5db3d7, v60
	v_sub_f32_e32 v14, v16, v14
	ds_store_2addr_b32 v57, v10, v13 offset1:100
	v_add_f32_e32 v13, v97, v21
	v_dual_add_f32 v10, v105, v97 :: v_dual_add_f32 v9, v43, v8
	v_sub_f32_e32 v8, v43, v8
	v_add_nc_u32_e32 v120, 0x400, v57
	s_delay_alu instid0(VALU_DEP_4) | instskip(NEXT) | instid1(VALU_DEP_4)
	v_fmac_f32_e32 v105, -0.5, v13
	v_add_f32_e32 v97, v10, v21
	ds_store_2addr_b32 v119, v9, v7 offset0:72 offset1:172
	ds_store_2addr_b32 v120, v14, v8 offset0:144 offset1:244
	global_wb scope:SCOPE_SE
	s_wait_dscnt 0x0
	v_fmamk_f32 v123, v121, 0xbf5db3d7, v105
	v_dual_add_f32 v124, v97, v122 :: v_dual_fmac_f32 v105, 0x3f5db3d7, v121
	s_barrier_signal -1
	s_barrier_wait -1
	s_delay_alu instid0(VALU_DEP_2)
	v_add_f32_e32 v125, v123, v56
	global_inv scope:SCOPE_SE
	ds_load_b32 v43, v48
	ds_load_b32 v45, v52
	;; [unrolled: 1-line block ×5, first 2 shown]
	ds_load_b32 v52, v48 offset:13920
	ds_load_2addr_b32 v[7:8], v33 offset0:88 offset1:208
	ds_load_2addr_b32 v[27:28], v34 offset0:56 offset1:176
	;; [unrolled: 1-line block ×12, first 2 shown]
	global_wb scope:SCOPE_SE
	s_wait_dscnt 0x0
	s_barrier_signal -1
	s_barrier_wait -1
	global_inv scope:SCOPE_SE
	ds_store_2addr_b32 v55, v124, v125 offset1:100
	v_sub_f32_e32 v55, v97, v122
	v_add_f32_e32 v97, v105, v84
	v_sub_f32_e32 v56, v123, v56
	v_sub_f32_e32 v84, v105, v84
	v_add_f32_e32 v83, v109, v96
	ds_store_2addr_b32 v101, v97, v55 offset0:72 offset1:172
	ds_store_2addr_b32 v54, v56, v84 offset0:144 offset1:244
	v_add_f32_e32 v54, v81, v93
	v_dual_add_f32 v81, v76, v89 :: v_dual_add_f32 v76, v95, v76
	v_fmamk_f32 v56, v82, 0xbf5db3d7, v99
	v_dual_fmac_f32 v99, 0x3f5db3d7, v82 :: v_dual_sub_f32 v72, v72, v91
	s_delay_alu instid0(VALU_DEP_3) | instskip(NEXT) | instid1(VALU_DEP_4)
	v_fmac_f32_e32 v95, -0.5, v81
	v_add_f32_e32 v76, v76, v89
	v_mul_f32_e32 v62, -0.5, v62
	v_dual_add_f32 v84, v113, v92 :: v_dual_mul_f32 v63, 0xbf5db3d7, v63
	s_delay_alu instid0(VALU_DEP_4)
	v_fmamk_f32 v82, v78, 0xbf5db3d7, v95
	v_dual_fmac_f32 v95, 0x3f5db3d7, v78 :: v_dual_add_f32 v78, v73, v87
	v_add_f32_e32 v73, v104, v73
	v_add_f32_e32 v66, v76, v83
	v_sub_f32_e32 v76, v76, v83
	v_fmac_f32_e32 v62, 0xbf5db3d7, v61
	s_delay_alu instid0(VALU_DEP_4) | instskip(SKIP_3) | instid1(VALU_DEP_4)
	v_dual_fmac_f32 v104, -0.5, v78 :: v_dual_add_f32 v73, v73, v87
	v_add_f32_e32 v61, v103, v65
	v_mul_f32_e32 v81, 0xbf5db3d7, v111
	v_fmac_f32_e32 v63, 0.5, v114
	v_fmamk_f32 v83, v72, 0xbf5db3d7, v104
	v_fmac_f32_e32 v104, 0x3f5db3d7, v72
	v_add_f32_e32 v72, v65, v86
	v_add_f32_e32 v65, v73, v84
	v_dual_mul_f32 v55, 0xbf5db3d7, v58 :: v_dual_mul_f32 v58, -0.5, v79
	v_add_f32_e32 v79, v107, v98
	s_delay_alu instid0(VALU_DEP_4) | instskip(SKIP_1) | instid1(VALU_DEP_4)
	v_fmac_f32_e32 v103, -0.5, v72
	v_sub_f32_e32 v64, v64, v88
	v_fmac_f32_e32 v55, 0.5, v100
	v_dual_mul_f32 v53, 0xbf5db3d7, v53 :: v_dual_mul_f32 v60, -0.5, v60
	v_dual_fmac_f32 v58, 0xbf5db3d7, v77 :: v_dual_fmac_f32 v81, 0.5, v110
	v_add_f32_e32 v77, v54, v79
	v_sub_f32_e32 v54, v54, v79
	v_dual_add_f32 v79, v56, v55 :: v_dual_sub_f32 v72, v73, v84
	v_add_f32_e32 v73, v83, v63
	v_sub_f32_e32 v63, v83, v63
	v_add_f32_e32 v61, v61, v86
	v_fmamk_f32 v83, v64, 0xbf5db3d7, v103
	v_dual_fmac_f32 v103, 0x3f5db3d7, v64 :: v_dual_add_f32 v64, v117, v106
	v_dual_fmac_f32 v53, 0.5, v118 :: v_dual_fmac_f32 v60, 0xbf5db3d7, v59
	v_dual_sub_f32 v55, v56, v55 :: v_dual_add_f32 v56, v99, v58
	v_sub_f32_e32 v58, v99, v58
	v_add_f32_e32 v78, v82, v81
	v_dual_sub_f32 v81, v82, v81 :: v_dual_add_f32 v82, v95, v75
	v_dual_sub_f32 v75, v95, v75 :: v_dual_add_f32 v84, v104, v62
	;; [unrolled: 1-line block ×4, first 2 shown]
	v_add_f32_e32 v64, v103, v60
	v_sub_f32_e32 v53, v83, v53
	v_sub_f32_e32 v60, v103, v60
	ds_store_2addr_b32 v80, v77, v79 offset1:100
	ds_store_2addr_b32 v108, v56, v54 offset0:72 offset1:172
	ds_store_2addr_b32 v102, v55, v58 offset0:144 offset1:244
	ds_store_2addr_b32 v5, v66, v78 offset1:100
	ds_store_2addr_b32 v85, v82, v76 offset0:72 offset1:172
	ds_store_2addr_b32 v112, v81, v75 offset0:144 offset1:244
	;; [unrolled: 3-line block ×4, first 2 shown]
	global_wb scope:SCOPE_SE
	s_wait_dscnt 0x0
	s_barrier_signal -1
	s_barrier_wait -1
	global_inv scope:SCOPE_SE
	s_and_saveexec_b32 s0, vcc_lo
	s_cbranch_execz .LBB0_15
; %bb.14:
	v_mul_u32_u24_e32 v5, 5, v67
	v_mul_i32_i24_e32 v114, 0xffffffdc, v69
	v_mul_i32_i24_e32 v115, 0xffffffdc, v71
	v_mul_lo_u32 v116, s3, v3
	v_mul_lo_u32 v117, s2, v4
	v_lshlrev_b32_e32 v61, 3, v5
	v_mul_i32_i24_e32 v5, 5, v70
	s_clause 0x2
	global_load_b128 v[53:56], v61, s[8:9] offset:4720
	global_load_b128 v[57:60], v61, s[8:9] offset:4736
	global_load_b64 v[65:66], v61, s[8:9] offset:4752
	v_lshlrev_b64_e32 v[61:62], 3, v[5:6]
	v_mul_i32_i24_e32 v5, 5, v68
	s_delay_alu instid0(VALU_DEP_2) | instskip(SKIP_1) | instid1(VALU_DEP_3)
	v_add_co_u32 v76, vcc_lo, s8, v61
	s_wait_alu 0xfffd
	v_add_co_ci_u32_e32 v77, vcc_lo, s9, v62, vcc_lo
	s_clause 0x2
	global_load_b128 v[61:64], v[76:77], off offset:4720
	global_load_b128 v[72:75], v[76:77], off offset:4736
	global_load_b64 v[100:101], v[76:77], off offset:4752
	v_lshlrev_b64_e32 v[76:77], 3, v[5:6]
	v_mul_i32_i24_e32 v5, 5, v71
	s_delay_alu instid0(VALU_DEP_2) | instskip(SKIP_1) | instid1(VALU_DEP_3)
	v_add_co_u32 v84, vcc_lo, s8, v76
	s_wait_alu 0xfffd
	v_add_co_ci_u32_e32 v85, vcc_lo, s9, v77, vcc_lo
	s_clause 0x2
	global_load_b128 v[76:79], v[84:85], off offset:4720
	global_load_b128 v[80:83], v[84:85], off offset:4736
	global_load_b64 v[102:103], v[84:85], off offset:4752
	v_lshlrev_b64_e32 v[84:85], 3, v[5:6]
	v_mul_i32_i24_e32 v5, 5, v69
	v_mad_co_u64_u32 v[68:69], null, s2, v3, 0
	s_delay_alu instid0(VALU_DEP_2) | instskip(NEXT) | instid1(VALU_DEP_4)
	v_lshlrev_b64_e32 v[5:6], 3, v[5:6]
	v_add_co_u32 v92, vcc_lo, s8, v84
	s_wait_alu 0xfffd
	v_add_co_ci_u32_e32 v93, vcc_lo, s9, v85, vcc_lo
	s_clause 0x2
	global_load_b128 v[84:87], v[92:93], off offset:4720
	global_load_b128 v[88:91], v[92:93], off offset:4736
	global_load_b64 v[104:105], v[92:93], off offset:4752
	v_add_co_u32 v5, vcc_lo, s8, v5
	s_wait_alu 0xfffd
	v_add_co_ci_u32_e32 v6, vcc_lo, s9, v6, vcc_lo
	s_clause 0x2
	global_load_b128 v[92:95], v[5:6], off offset:4720
	global_load_b128 v[96:99], v[5:6], off offset:4736
	global_load_b64 v[106:107], v[5:6], off offset:4752
	ds_load_2addr_b32 v[3:4], v40 offset0:24 offset1:144
	ds_load_2addr_b32 v[5:6], v42 offset0:72 offset1:192
	;; [unrolled: 1-line block ×4, first 2 shown]
	ds_load_b32 v42, v41
	ds_load_b32 v118, v49
	ds_load_2addr_b32 v[36:37], v37 offset0:72 offset1:192
	ds_load_2addr_b32 v[33:34], v33 offset0:88 offset1:208
	;; [unrolled: 1-line block ×8, first 2 shown]
	v_add_nc_u32_e32 v0, v0, v114
	ds_load_b32 v114, v48 offset:13920
	ds_load_b32 v48, v48
	v_mul_hi_u32 v35, 0x1b4e81b5, v67
	v_add_nc_u32_e32 v47, v47, v115
	v_add3_u32 v69, v69, v117, v116
	s_delay_alu instid0(VALU_DEP_1) | instskip(NEXT) | instid1(VALU_DEP_4)
	v_lshlrev_b64_e32 v[68:69], 3, v[68:69]
	v_lshrrev_b32_e32 v115, 6, v35
	s_wait_loadcnt_dscnt 0xe08
	v_mul_f32_e32 v117, v54, v33
	s_wait_loadcnt 0xd
	v_mul_f32_e32 v116, v60, v109
	ds_load_b32 v35, v47
	ds_load_b32 v0, v0
	s_wait_loadcnt_dscnt 0xc08
	v_dual_mul_f32 v47, v56, v71 :: v_dual_mul_f32 v120, v66, v49
	v_mul_f32_e32 v71, v55, v71
	v_mul_f32_e32 v119, v58, v40
	v_dual_mul_f32 v40, v57, v40 :: v_dual_mul_f32 v109, v59, v109
	v_mul_f32_e32 v121, v65, v49
	v_fma_f32 v55, v28, v55, -v47
	v_fma_f32 v59, v30, v59, -v116
	v_mul_f32_e32 v33, v53, v33
	v_dual_fmac_f32 v40, v9, v58 :: v_dual_fmac_f32 v109, v30, v60
	v_fma_f32 v60, v11, v65, -v120
	s_wait_loadcnt_dscnt 0x903
	v_mul_f32_e32 v30, v101, v114
	v_fma_f32 v57, v9, v57, -v119
	v_fmac_f32_e32 v33, v7, v54
	v_mul_f32_e32 v9, v75, v6
	v_mul_f32_e32 v6, v74, v6
	v_fmac_f32_e32 v121, v11, v66
	v_fmac_f32_e32 v71, v28, v56
	v_fma_f32 v56, v7, v53, -v117
	v_dual_mul_f32 v11, v62, v70 :: v_dual_mul_f32 v28, v73, v108
	v_dual_mul_f32 v47, v72, v108 :: v_dual_fmac_f32 v6, v26, v75
	v_dual_mul_f32 v53, v61, v70 :: v_dual_sub_f32 v66, v40, v121
	v_dual_sub_f32 v70, v57, v60 :: v_dual_mul_f32 v49, v100, v114
	v_add_f32_e32 v116, v33, v40
	v_add_f32_e32 v108, v40, v121
	v_dual_add_f32 v40, v55, v59 :: v_dual_mul_f32 v7, v64, v4
	v_add_f32_e32 v58, v71, v109
	v_mul_f32_e32 v4, v63, v4
	v_add_f32_e32 v65, v57, v60
	s_wait_dscnt 0x2
	v_add_f32_e32 v114, v71, v48
	v_sub_f32_e32 v71, v71, v109
	v_fma_f32 v7, v24, v63, -v7
	v_fma_f32 v9, v26, v74, -v9
	v_fmac_f32_e32 v4, v24, v64
	v_fma_f32 v11, v27, v61, -v11
	v_fma_f32 v24, v29, v72, -v28
	;; [unrolled: 1-line block ×3, first 2 shown]
	s_wait_loadcnt 0x7
	v_mul_f32_e32 v30, v81, v111
	v_fmac_f32_e32 v47, v29, v73
	v_fmac_f32_e32 v49, v52, v101
	;; [unrolled: 1-line block ×3, first 2 shown]
	v_mul_f32_e32 v27, v79, v3
	v_dual_mul_f32 v28, v83, v5 :: v_dual_mul_f32 v3, v78, v3
	v_dual_mul_f32 v29, v82, v5 :: v_dual_sub_f32 v72, v24, v26
	v_dual_mul_f32 v5, v77, v37 :: v_dual_add_f32 v74, v4, v42
	s_wait_loadcnt 0x6
	v_mul_f32_e32 v52, v103, v39
	v_mul_f32_e32 v61, v80, v111
	v_dual_mul_f32 v39, v102, v39 :: v_dual_sub_f32 v100, v4, v6
	v_dual_mul_f32 v37, v76, v37 :: v_dual_sub_f32 v54, v55, v59
	v_fma_f32 v62, -0.5, v58, v48
	v_fma_f32 v58, -0.5, v65, v56
	;; [unrolled: 1-line block ×4, first 2 shown]
	v_dual_sub_f32 v33, v7, v9 :: v_dual_add_f32 v40, v4, v6
	v_dual_add_f32 v48, v24, v26 :: v_dual_add_f32 v75, v7, v9
	v_add_f32_e32 v4, v51, v7
	v_sub_f32_e32 v65, v47, v49
	v_add_f32_e32 v73, v47, v49
	v_add_f32_e32 v7, v11, v24
	v_fma_f32 v24, v23, v78, -v27
	v_fma_f32 v27, v25, v82, -v28
	v_fmac_f32_e32 v3, v23, v79
	v_dual_fmac_f32 v29, v25, v83 :: v_dual_fmamk_f32 v78, v66, 0xbf5db3d7, v58
	v_fma_f32 v23, v18, v76, -v5
	v_fma_f32 v5, v20, v80, -v30
	;; [unrolled: 1-line block ×3, first 2 shown]
	v_dual_fmac_f32 v39, v22, v103 :: v_dual_fmac_f32 v58, 0x3f5db3d7, v66
	v_fmac_f32_e32 v37, v18, v77
	s_wait_loadcnt 0x5
	v_mul_f32_e32 v18, v87, v113
	s_wait_loadcnt 0x4
	v_dual_fmac_f32 v61, v20, v81 :: v_dual_mul_f32 v20, v91, v32
	v_dual_mul_f32 v22, v86, v113 :: v_dual_add_f32 v47, v53, v47
	v_mul_f32_e32 v76, v88, v110
	v_mul_f32_e32 v28, v90, v32
	;; [unrolled: 1-line block ×4, first 2 shown]
	s_wait_loadcnt 0x3
	v_mul_f32_e32 v52, v105, v38
	v_mul_f32_e32 v38, v104, v38
	v_dual_mul_f32 v36, v84, v36 :: v_dual_fmamk_f32 v77, v54, 0x3f5db3d7, v62
	v_fmac_f32_e32 v62, 0xbf5db3d7, v54
	v_dual_sub_f32 v54, v5, v25 :: v_dual_fmamk_f32 v79, v70, 0x3f5db3d7, v63
	v_dual_add_f32 v66, v61, v39 :: v_dual_fmac_f32 v63, 0xbf5db3d7, v70
	v_fma_f32 v40, -0.5, v40, v42
	v_fma_f32 v11, -0.5, v48, v11
	;; [unrolled: 1-line block ×3, first 2 shown]
	v_dual_add_f32 v6, v6, v74 :: v_dual_add_f32 v47, v47, v49
	v_fma_f32 v48, -0.5, v75, v51
	v_dual_add_f32 v9, v4, v9 :: v_dual_add_f32 v70, v3, v118
	v_dual_add_f32 v7, v7, v26 :: v_dual_sub_f32 v26, v24, v27
	v_dual_add_f32 v49, v3, v29 :: v_dual_fmac_f32 v22, v14, v87
	v_dual_add_f32 v51, v5, v25 :: v_dual_fmac_f32 v28, v16, v91
	v_dual_sub_f32 v53, v61, v39 :: v_dual_fmac_f32 v76, v19, v89
	v_add_f32_e32 v61, v37, v61
	v_dual_add_f32 v73, v24, v27 :: v_dual_fmac_f32 v38, v21, v105
	v_dual_add_f32 v24, v46, v24 :: v_dual_add_f32 v75, v23, v5
	v_fma_f32 v18, v14, v86, -v18
	v_fma_f32 v20, v16, v90, -v20
	;; [unrolled: 1-line block ×5, first 2 shown]
	s_wait_loadcnt 0x2
	v_dual_fmac_f32 v36, v17, v85 :: v_dual_mul_f32 v17, v95, v112
	s_wait_loadcnt 0x1
	v_dual_mul_f32 v19, v99, v31 :: v_dual_mul_f32 v32, v97, v41
	s_wait_loadcnt 0x0
	v_dual_mul_f32 v21, v94, v112 :: v_dual_mul_f32 v80, v107, v50
	v_dual_mul_f32 v52, v98, v31 :: v_dual_mul_f32 v31, v93, v34
	;; [unrolled: 1-line block ×3, first 2 shown]
	v_mul_f32_e32 v50, v106, v50
	v_dual_mul_f32 v34, v92, v34 :: v_dual_mul_f32 v81, -0.5, v79
	v_dual_sub_f32 v74, v3, v29 :: v_dual_fmamk_f32 v83, v33, 0x3f5db3d7, v40
	v_sub_f32_e32 v4, v6, v47
	v_fmamk_f32 v84, v65, 0xbf5db3d7, v11
	v_dual_fmamk_f32 v85, v72, 0x3f5db3d7, v42 :: v_dual_add_f32 v6, v6, v47
	v_fmac_f32_e32 v40, 0xbf5db3d7, v33
	v_dual_fmac_f32 v42, 0xbf5db3d7, v72 :: v_dual_sub_f32 v3, v9, v7
	v_fmac_f32_e32 v11, 0x3f5db3d7, v65
	v_fmamk_f32 v33, v100, 0xbf5db3d7, v48
	v_dual_fmac_f32 v48, 0x3f5db3d7, v100 :: v_dual_add_f32 v5, v9, v7
	v_fma_f32 v47, -0.5, v49, v118
	v_fma_f32 v49, -0.5, v51, v23
	;; [unrolled: 1-line block ×3, first 2 shown]
	s_wait_dscnt 0x1
	v_dual_add_f32 v7, v29, v70 :: v_dual_add_f32 v66, v22, v35
	v_dual_add_f32 v9, v61, v39 :: v_dual_add_f32 v70, v36, v76
	v_fma_f32 v29, -0.5, v73, v46
	v_dual_add_f32 v23, v24, v27 :: v_dual_add_f32 v72, v18, v20
	v_add_f32_e32 v25, v75, v25
	v_dual_sub_f32 v27, v18, v20 :: v_dual_add_f32 v18, v45, v18
	v_dual_add_f32 v39, v22, v28 :: v_dual_fmac_f32 v52, v15, v99
	v_add_f32_e32 v46, v16, v30
	v_add_f32_e32 v65, v76, v38
	v_dual_add_f32 v73, v14, v16 :: v_dual_fmac_f32 v50, v12, v107
	v_fma_f32 v17, v13, v94, -v17
	v_fma_f32 v19, v15, v98, -v19
	v_dual_fmac_f32 v21, v13, v95 :: v_dual_fmac_f32 v34, v8, v93
	v_fma_f32 v13, v8, v92, -v31
	v_fma_f32 v31, v10, v96, -v32
	v_fmac_f32_e32 v41, v10, v97
	v_dual_sub_f32 v51, v76, v38 :: v_dual_fmac_f32 v82, 0.5, v63
	v_dual_sub_f32 v61, v16, v30 :: v_dual_sub_f32 v22, v22, v28
	v_fma_f32 v75, v12, v106, -v80
	v_dual_mul_f32 v12, -0.5, v85 :: v_dual_fmac_f32 v81, 0xbf5db3d7, v78
	v_sub_f32_e32 v16, v7, v9
	v_mul_f32_e32 v76, 0xbf5db3d7, v11
	v_mul_f32_e32 v80, -0.5, v84
	v_dual_mul_f32 v86, 0x3f5db3d7, v42 :: v_dual_fmamk_f32 v87, v26, 0x3f5db3d7, v47
	v_dual_fmamk_f32 v88, v53, 0xbf5db3d7, v49 :: v_dual_sub_f32 v15, v23, v25
	v_dual_fmamk_f32 v89, v54, 0x3f5db3d7, v37 :: v_dual_add_f32 v24, v7, v9
	v_fmac_f32_e32 v47, 0xbf5db3d7, v26
	v_fmac_f32_e32 v37, 0xbf5db3d7, v54
	v_dual_fmac_f32 v49, 0x3f5db3d7, v53 :: v_dual_add_f32 v8, v70, v38
	v_add_f32_e32 v23, v23, v25
	v_fma_f32 v54, -0.5, v39, v35
	v_fma_f32 v39, -0.5, v46, v14
	;; [unrolled: 1-line block ×3, first 2 shown]
	s_wait_dscnt 0x0
	v_dual_add_f32 v36, v21, v0 :: v_dual_add_f32 v7, v28, v66
	v_sub_f32_e32 v26, v31, v75
	v_fma_f32 v65, -0.5, v72, v45
	v_dual_add_f32 v9, v18, v20 :: v_dual_sub_f32 v18, v17, v19
	v_dual_sub_f32 v25, v41, v50 :: v_dual_add_f32 v38, v34, v41
	v_dual_add_f32 v35, v41, v50 :: v_dual_fmac_f32 v12, 0xbf5db3d7, v84
	v_dual_add_f32 v41, v17, v19 :: v_dual_fmac_f32 v76, 0.5, v42
	v_dual_add_f32 v17, v44, v17 :: v_dual_fmac_f32 v86, 0.5, v11
	v_dual_add_f32 v45, v13, v31 :: v_dual_mul_f32 v42, -0.5, v89
	v_dual_fmamk_f32 v53, v74, 0xbf5db3d7, v29 :: v_dual_add_f32 v10, v73, v30
	v_dual_fmac_f32 v29, 0x3f5db3d7, v74 :: v_dual_add_f32 v20, v31, v75
	v_add_f32_e32 v14, v21, v52
	v_dual_sub_f32 v21, v21, v52 :: v_dual_fmac_f32 v80, 0x3f5db3d7, v85
	v_mul_f32_e32 v72, 0x3f5db3d7, v37
	v_fmamk_f32 v84, v61, 0x3f5db3d7, v46
	v_dual_fmac_f32 v46, 0xbf5db3d7, v61 :: v_dual_add_f32 v17, v17, v19
	v_dual_sub_f32 v28, v7, v8 :: v_dual_add_f32 v19, v45, v75
	v_fma_f32 v85, -0.5, v35, v34
	v_sub_f32_e32 v30, v77, v81
	v_mul_f32_e32 v66, 0xbf5db3d7, v49
	v_dual_mul_f32 v70, -0.5, v88 :: v_dual_fmamk_f32 v73, v27, 0x3f5db3d7, v54
	v_fmamk_f32 v74, v51, 0xbf5db3d7, v39
	v_dual_fmac_f32 v54, 0xbf5db3d7, v27 :: v_dual_add_f32 v31, v9, v10
	v_fmac_f32_e32 v39, 0x3f5db3d7, v51
	v_fmamk_f32 v51, v22, 0xbf5db3d7, v65
	v_fmac_f32_e32 v65, 0x3f5db3d7, v22
	v_sub_f32_e32 v27, v9, v10
	v_fma_f32 v0, -0.5, v14, v0
	v_fma_f32 v61, -0.5, v20, v13
	v_add_f32_e32 v20, v52, v36
	v_add_f32_e32 v22, v38, v50
	v_sub_f32_e32 v10, v40, v76
	v_add_f32_e32 v14, v40, v76
	v_dual_fmac_f32 v72, 0.5, v49 :: v_dual_add_f32 v35, v17, v19
	v_fmamk_f32 v76, v26, 0x3f5db3d7, v85
	v_dual_add_f32 v32, v7, v8 :: v_dual_sub_f32 v9, v48, v86
	v_fma_f32 v52, -0.5, v41, v44
	v_dual_sub_f32 v8, v83, v12 :: v_dual_add_f32 v13, v48, v86
	v_sub_f32_e32 v7, v33, v80
	v_dual_add_f32 v11, v33, v80 :: v_dual_fmac_f32 v66, 0.5, v37
	v_dual_fmac_f32 v42, 0xbf5db3d7, v88 :: v_dual_sub_f32 v33, v17, v19
	v_dual_fmac_f32 v70, 0x3f5db3d7, v89 :: v_dual_mul_f32 v41, -0.5, v84
	v_dual_mul_f32 v48, -0.5, v74 :: v_dual_sub_f32 v19, v29, v72
	v_mul_f32_e32 v49, 0x3f5db3d7, v46
	v_fmamk_f32 v75, v25, 0xbf5db3d7, v61
	v_dual_fmac_f32 v61, 0x3f5db3d7, v25 :: v_dual_sub_f32 v34, v20, v22
	v_add_f32_e32 v25, v29, v72
	v_mul_f32_e32 v29, -0.5, v76
	v_dual_add_f32 v12, v83, v12 :: v_dual_fmac_f32 v85, 0xbf5db3d7, v26
	v_dual_mul_f32 v44, 0xbf5db3d7, v39 :: v_dual_sub_f32 v17, v53, v70
	v_fmamk_f32 v50, v18, 0x3f5db3d7, v0
	v_dual_fmamk_f32 v80, v21, 0xbf5db3d7, v52 :: v_dual_fmac_f32 v41, 0xbf5db3d7, v74
	v_add_f32_e32 v36, v20, v22
	v_dual_add_f32 v22, v87, v42 :: v_dual_fmac_f32 v29, 0xbf5db3d7, v75
	v_fmac_f32_e32 v48, 0x3f5db3d7, v84
	v_dual_fmac_f32 v52, 0x3f5db3d7, v21 :: v_dual_add_f32 v21, v53, v70
	v_dual_mul_f32 v53, 0xbf5db3d7, v61 :: v_dual_fmac_f32 v0, 0xbf5db3d7, v18
	v_dual_fmac_f32 v49, 0.5, v39 :: v_dual_add_f32 v26, v47, v66
	s_delay_alu instid0(VALU_DEP_2) | instskip(NEXT) | instid1(VALU_DEP_2)
	v_dual_fmac_f32 v44, 0.5, v46 :: v_dual_fmac_f32 v53, 0.5, v85
	v_dual_sub_f32 v18, v87, v42 :: v_dual_sub_f32 v39, v65, v49
	v_sub_f32_e32 v38, v73, v41
	v_dual_add_f32 v42, v73, v41 :: v_dual_add_f32 v41, v51, v48
	s_delay_alu instid0(VALU_DEP_4)
	v_dual_sub_f32 v20, v47, v66 :: v_dual_add_f32 v45, v54, v44
	v_mul_f32_e32 v66, -0.5, v75
	v_sub_f32_e32 v40, v54, v44
	v_add_f32_e32 v44, v65, v49
	v_sub_f32_e32 v49, v0, v53
	v_add_f32_e32 v53, v0, v53
	v_mul_u32_u24_e32 v0, 0x258, v115
	v_fmac_f32_e32 v66, 0x3f5db3d7, v76
	v_dual_mul_f32 v70, 0x3f5db3d7, v85 :: v_dual_add_f32 v65, v109, v114
	v_sub_f32_e32 v47, v50, v29
	s_delay_alu instid0(VALU_DEP_4) | instskip(SKIP_1) | instid1(VALU_DEP_4)
	v_sub_nc_u32_e32 v76, v67, v0
	v_add_f32_e32 v0, v43, v55
	v_dual_fmac_f32 v70, 0.5, v61 :: v_dual_sub_f32 v37, v51, v48
	v_add_f32_e32 v51, v50, v29
	s_delay_alu instid0(VALU_DEP_4) | instskip(NEXT) | instid1(VALU_DEP_4)
	v_mad_co_u64_u32 v[54:55], null, s16, v76, 0
	v_add_f32_e32 v43, v0, v59
	s_delay_alu instid0(VALU_DEP_4)
	v_dual_sub_f32 v48, v52, v70 :: v_dual_add_nc_u32 v75, 0x258, v76
	v_add_f32_e32 v52, v52, v70
	v_add_f32_e32 v70, v116, v121
	v_dual_sub_f32 v46, v80, v66 :: v_dual_add_f32 v61, v77, v81
	v_dual_mov_b32 v0, v55 :: v_dual_mul_f32 v73, 0x3f5db3d7, v63
	v_dual_add_f32 v63, v62, v82 :: v_dual_fmamk_f32 v72, v71, 0xbf5db3d7, v64
	s_delay_alu instid0(VALU_DEP_4) | instskip(SKIP_1) | instid1(VALU_DEP_4)
	v_dual_sub_f32 v59, v65, v70 :: v_dual_fmac_f32 v64, 0x3f5db3d7, v71
	v_add_f32_e32 v65, v65, v70
	v_mad_co_u64_u32 v[70:71], null, s17, v76, v[0:1]
	v_add_f32_e32 v50, v80, v66
	v_dual_mul_f32 v66, -0.5, v78 :: v_dual_add_f32 v29, v56, v57
	v_dual_fmac_f32 v73, 0.5, v58 :: v_dual_add_nc_u32 v80, 0xbb8, v76
	v_sub_f32_e32 v57, v62, v82
	s_delay_alu instid0(VALU_DEP_3) | instskip(NEXT) | instid1(VALU_DEP_3)
	v_dual_mov_b32 v55, v70 :: v_dual_add_f32 v74, v29, v60
	v_mad_co_u64_u32 v[77:78], null, s16, v80, 0
	v_fmac_f32_e32 v66, 0x3f5db3d7, v79
	v_lshlrev_b64_e32 v[1:2], 3, v[1:2]
	s_delay_alu instid0(VALU_DEP_4) | instskip(SKIP_1) | instid1(VALU_DEP_4)
	v_dual_sub_f32 v58, v43, v74 :: v_dual_add_nc_u32 v79, 0x960, v76
	v_lshlrev_b64_e32 v[54:55], 3, v[54:55]
	v_sub_f32_e32 v29, v72, v66
	v_add_f32_e32 v60, v72, v66
	v_mad_co_u64_u32 v[71:72], null, s16, v75, 0
	v_sub_f32_e32 v56, v64, v73
	v_add_f32_e32 v62, v64, v73
	v_dual_add_f32 v64, v43, v74 :: v_dual_add_nc_u32 v43, 0x4b0, v76
	v_add_co_u32 v66, vcc_lo, s6, v68
	s_wait_alu 0xfffd
	v_add_co_ci_u32_e32 v70, vcc_lo, s7, v69, vcc_lo
	s_delay_alu instid0(VALU_DEP_3) | instskip(SKIP_1) | instid1(VALU_DEP_1)
	v_mad_co_u64_u32 v[68:69], null, s16, v43, 0
	v_mov_b32_e32 v0, v72
	v_mad_co_u64_u32 v[72:73], null, s17, v75, v[0:1]
	v_add_co_u32 v0, vcc_lo, v66, v1
	s_wait_alu 0xfffd
	v_add_co_ci_u32_e32 v1, vcc_lo, v70, v2, vcc_lo
	v_add_nc_u32_e32 v66, 0x708, v76
	v_mov_b32_e32 v2, v69
	v_add_co_u32 v54, vcc_lo, v0, v54
	s_wait_alu 0xfffd
	v_add_co_ci_u32_e32 v55, vcc_lo, v1, v55, vcc_lo
	v_mad_co_u64_u32 v[73:74], null, s16, v66, 0
	v_mad_co_u64_u32 v[69:70], null, s17, v43, v[2:3]
	v_add_nc_u32_e32 v43, 0x78, v67
	v_lshlrev_b64_e32 v[70:71], 3, v[71:72]
	s_delay_alu instid0(VALU_DEP_4) | instskip(NEXT) | instid1(VALU_DEP_3)
	v_mov_b32_e32 v2, v74
	v_mul_hi_u32 v72, 0x1b4e81b5, v43
	v_lshlrev_b64_e32 v[68:69], 3, v[68:69]
	s_delay_alu instid0(VALU_DEP_4) | instskip(NEXT) | instid1(VALU_DEP_4)
	v_add_co_u32 v70, vcc_lo, v0, v70
	v_mad_co_u64_u32 v[74:75], null, s17, v66, v[2:3]
	v_mad_co_u64_u32 v[75:76], null, s16, v79, 0
	v_lshrrev_b32_e32 v66, 6, v72
	s_wait_alu 0xfffd
	v_add_co_ci_u32_e32 v71, vcc_lo, v1, v71, vcc_lo
	v_add_co_u32 v68, vcc_lo, v0, v68
	s_delay_alu instid0(VALU_DEP_3)
	v_mul_u32_u24_e32 v2, 0x258, v66
	v_lshlrev_b64_e32 v[72:73], 3, v[73:74]
	s_wait_alu 0xfffd
	v_add_co_ci_u32_e32 v69, vcc_lo, v1, v69, vcc_lo
	s_clause 0x1
	global_store_b64 v[54:55], v[64:65], off
	global_store_b64 v[70:71], v[62:63], off
	v_sub_nc_u32_e32 v81, v43, v2
	v_dual_mov_b32 v2, v76 :: v_dual_mov_b32 v43, v78
	v_add_co_u32 v72, vcc_lo, v0, v72
	s_delay_alu instid0(VALU_DEP_3) | instskip(NEXT) | instid1(VALU_DEP_3)
	v_mad_u32_u24 v74, 0xe10, v66, v81
	v_mad_co_u64_u32 v[78:79], null, s17, v79, v[2:3]
	s_delay_alu instid0(VALU_DEP_4) | instskip(NEXT) | instid1(VALU_DEP_3)
	v_mad_co_u64_u32 v[79:80], null, s17, v80, v[43:44]
	v_mad_co_u64_u32 v[80:81], null, s16, v74, 0
	s_wait_alu 0xfffd
	v_add_co_ci_u32_e32 v73, vcc_lo, v1, v73, vcc_lo
	s_delay_alu instid0(VALU_DEP_4)
	v_mov_b32_e32 v76, v78
	s_clause 0x1
	global_store_b64 v[68:69], v[60:61], off
	global_store_b64 v[72:73], v[58:59], off
	v_dual_mov_b32 v2, v81 :: v_dual_add_nc_u32 v43, 0x258, v74
	v_mov_b32_e32 v78, v79
	v_lshlrev_b64_e32 v[54:55], 3, v[75:76]
	v_add_nc_u32_e32 v66, 0x4b0, v74
	s_delay_alu instid0(VALU_DEP_4)
	v_mad_co_u64_u32 v[61:62], null, s16, v43, 0
	v_mad_co_u64_u32 v[58:59], null, s17, v74, v[2:3]
	v_lshlrev_b64_e32 v[59:60], 3, v[77:78]
	v_add_co_u32 v54, vcc_lo, v0, v54
	s_wait_alu 0xfffd
	v_add_co_ci_u32_e32 v55, vcc_lo, v1, v55, vcc_lo
	s_delay_alu instid0(VALU_DEP_4) | instskip(NEXT) | instid1(VALU_DEP_4)
	v_dual_mov_b32 v2, v62 :: v_dual_mov_b32 v81, v58
	v_add_co_u32 v58, vcc_lo, v0, v59
	s_wait_alu 0xfffd
	v_add_co_ci_u32_e32 v59, vcc_lo, v1, v60, vcc_lo
	s_delay_alu instid0(VALU_DEP_3) | instskip(SKIP_3) | instid1(VALU_DEP_4)
	v_lshlrev_b64_e32 v[62:63], 3, v[80:81]
	v_add_nc_u32_e32 v60, 0xf0, v67
	v_mad_co_u64_u32 v[68:69], null, s17, v43, v[2:3]
	v_mad_co_u64_u32 v[64:65], null, s16, v66, 0
	v_add_co_u32 v69, vcc_lo, v0, v62
	v_add_nc_u32_e32 v43, 0x708, v74
	s_wait_alu 0xfffd
	v_add_co_ci_u32_e32 v70, vcc_lo, v1, v63, vcc_lo
	v_mul_hi_u32 v63, 0x1b4e81b5, v60
	v_mov_b32_e32 v2, v65
	v_mad_co_u64_u32 v[71:72], null, s16, v43, 0
	s_clause 0x2
	global_store_b64 v[54:55], v[56:57], off
	global_store_b64 v[58:59], v[29:30], off
	;; [unrolled: 1-line block ×3, first 2 shown]
	v_mov_b32_e32 v62, v68
	v_mad_co_u64_u32 v[65:66], null, s17, v66, v[2:3]
	v_lshrrev_b32_e32 v58, 6, v63
	v_mov_b32_e32 v2, v72
	s_delay_alu instid0(VALU_DEP_4) | instskip(SKIP_1) | instid1(VALU_DEP_4)
	v_lshlrev_b64_e32 v[29:30], 3, v[61:62]
	v_add_nc_u32_e32 v62, 0x960, v74
	v_mul_u32_u24_e32 v56, 0x258, v58
	s_delay_alu instid0(VALU_DEP_4) | instskip(NEXT) | instid1(VALU_DEP_3)
	v_mad_co_u64_u32 v[35:36], null, s17, v43, v[2:3]
	v_mad_co_u64_u32 v[54:55], null, s16, v62, 0
	s_delay_alu instid0(VALU_DEP_3) | instskip(SKIP_3) | instid1(VALU_DEP_4)
	v_sub_nc_u32_e32 v2, v60, v56
	v_add_nc_u32_e32 v43, 0xbb8, v74
	v_lshlrev_b64_e32 v[56:57], 3, v[64:65]
	v_add_co_u32 v29, vcc_lo, v0, v29
	v_mad_u32_u24 v66, 0xe10, v58, v2
	v_mov_b32_e32 v72, v35
	v_mad_co_u64_u32 v[35:36], null, s16, v43, 0
	v_mov_b32_e32 v2, v55
	s_delay_alu instid0(VALU_DEP_4) | instskip(NEXT) | instid1(VALU_DEP_4)
	v_mad_co_u64_u32 v[58:59], null, s16, v66, 0
	v_lshlrev_b64_e32 v[60:61], 3, v[71:72]
	s_wait_alu 0xfffd
	v_add_co_ci_u32_e32 v30, vcc_lo, v1, v30, vcc_lo
	v_mad_co_u64_u32 v[62:63], null, s17, v62, v[2:3]
	v_mov_b32_e32 v2, v36
	v_mov_b32_e32 v36, v59
	v_add_co_u32 v56, vcc_lo, v0, v56
	s_wait_alu 0xfffd
	v_add_co_ci_u32_e32 v57, vcc_lo, v1, v57, vcc_lo
	v_mad_co_u64_u32 v[63:64], null, s17, v43, v[2:3]
	v_mad_co_u64_u32 v[64:65], null, s17, v66, v[36:37]
	v_add_co_u32 v59, vcc_lo, v0, v60
	v_mov_b32_e32 v55, v62
	s_wait_alu 0xfffd
	v_add_co_ci_u32_e32 v60, vcc_lo, v1, v61, vcc_lo
	v_dual_mov_b32 v36, v63 :: v_dual_add_nc_u32 v43, 0x258, v66
	s_clause 0x2
	global_store_b64 v[29:30], v[52:53], off
	global_store_b64 v[56:57], v[50:51], off
	;; [unrolled: 1-line block ×3, first 2 shown]
	v_lshlrev_b64_e32 v[29:30], 3, v[54:55]
	v_mov_b32_e32 v59, v64
	v_mad_co_u64_u32 v[33:34], null, s16, v43, 0
	v_lshlrev_b64_e32 v[35:36], 3, v[35:36]
	v_add_nc_u32_e32 v56, 0x4b0, v66
	v_add_co_u32 v29, vcc_lo, v0, v29
	v_lshlrev_b64_e32 v[50:51], 3, v[58:59]
	s_wait_alu 0xfffd
	v_add_co_ci_u32_e32 v30, vcc_lo, v1, v30, vcc_lo
	v_add_co_u32 v35, vcc_lo, v0, v35
	v_mov_b32_e32 v2, v34
	s_wait_alu 0xfffd
	v_add_co_ci_u32_e32 v36, vcc_lo, v1, v36, vcc_lo
	v_mad_co_u64_u32 v[52:53], null, s16, v56, 0
	v_add_co_u32 v50, vcc_lo, v0, v50
	global_store_b64 v[29:30], v[48:49], off
	v_add_nc_u32_e32 v49, 0x168, v67
	s_wait_alu 0xfffd
	v_add_co_ci_u32_e32 v51, vcc_lo, v1, v51, vcc_lo
	v_mad_co_u64_u32 v[54:55], null, s17, v43, v[2:3]
	v_add_nc_u32_e32 v43, 0x708, v66
	s_clause 0x1
	global_store_b64 v[35:36], v[46:47], off
	global_store_b64 v[50:51], v[31:32], off
	v_mul_hi_u32 v35, 0x1b4e81b5, v49
	v_mov_b32_e32 v2, v53
	v_add_nc_u32_e32 v50, 0x960, v66
	v_mad_co_u64_u32 v[31:32], null, s16, v43, 0
	v_mov_b32_e32 v34, v54
	s_delay_alu instid0(VALU_DEP_4) | instskip(SKIP_2) | instid1(VALU_DEP_4)
	v_mad_co_u64_u32 v[55:56], null, s17, v56, v[2:3]
	v_lshrrev_b32_e32 v51, 6, v35
	v_mad_co_u64_u32 v[35:36], null, s16, v50, 0
	v_lshlrev_b64_e32 v[29:30], 3, v[33:34]
	v_mov_b32_e32 v2, v32
	s_delay_alu instid0(VALU_DEP_4) | instskip(SKIP_1) | instid1(VALU_DEP_3)
	v_mul_u32_u24_e32 v32, 0x258, v51
	v_mov_b32_e32 v53, v55
	v_mad_co_u64_u32 v[46:47], null, s17, v43, v[2:3]
	v_add_nc_u32_e32 v43, 0xbb8, v66
	v_add_co_u32 v29, vcc_lo, v0, v29
	v_mov_b32_e32 v2, v36
	s_wait_alu 0xfffd
	v_add_co_ci_u32_e32 v30, vcc_lo, v1, v30, vcc_lo
	v_sub_nc_u32_e32 v36, v49, v32
	v_lshlrev_b64_e32 v[33:34], 3, v[52:53]
	v_mad_co_u64_u32 v[47:48], null, s16, v43, 0
	v_mad_co_u64_u32 v[49:50], null, s17, v50, v[2:3]
	v_mov_b32_e32 v32, v46
	global_store_b64 v[29:30], v[44:45], off
	v_mad_u32_u24 v44, 0xe10, v51, v36
	v_add_co_u32 v33, vcc_lo, v0, v33
	s_wait_alu 0xfffd
	v_add_co_ci_u32_e32 v34, vcc_lo, v1, v34, vcc_lo
	v_lshlrev_b64_e32 v[29:30], 3, v[31:32]
	v_mov_b32_e32 v2, v48
	v_mad_co_u64_u32 v[31:32], null, s16, v44, 0
	v_mov_b32_e32 v36, v49
	global_store_b64 v[33:34], v[41:42], off
	v_mad_co_u64_u32 v[33:34], null, s17, v43, v[2:3]
	v_add_co_u32 v29, vcc_lo, v0, v29
	v_lshlrev_b64_e32 v[34:35], 3, v[35:36]
	v_add_nc_u32_e32 v36, 0x258, v44
	v_mov_b32_e32 v2, v32
	s_wait_alu 0xfffd
	v_add_co_ci_u32_e32 v30, vcc_lo, v1, v30, vcc_lo
	v_mov_b32_e32 v48, v33
	v_mad_co_u64_u32 v[41:42], null, s16, v36, 0
	v_mad_co_u64_u32 v[32:33], null, s17, v44, v[2:3]
	global_store_b64 v[29:30], v[27:28], off
	v_lshlrev_b64_e32 v[27:28], 3, v[47:48]
	v_add_nc_u32_e32 v43, 0x4b0, v44
	v_add_co_u32 v29, vcc_lo, v0, v34
	v_mov_b32_e32 v2, v42
	v_lshlrev_b64_e32 v[31:32], 3, v[31:32]
	s_wait_alu 0xfffd
	v_add_co_ci_u32_e32 v30, vcc_lo, v1, v35, vcc_lo
	v_add_co_u32 v27, vcc_lo, v0, v27
	v_mad_co_u64_u32 v[33:34], null, s17, v36, v[2:3]
	v_mad_co_u64_u32 v[34:35], null, s16, v43, 0
	s_wait_alu 0xfffd
	v_add_co_ci_u32_e32 v28, vcc_lo, v1, v28, vcc_lo
	v_add_co_u32 v31, vcc_lo, v0, v31
	s_wait_alu 0xfffd
	v_add_co_ci_u32_e32 v32, vcc_lo, v1, v32, vcc_lo
	s_delay_alu instid0(VALU_DEP_4)
	v_mov_b32_e32 v2, v35
	s_clause 0x2
	global_store_b64 v[29:30], v[39:40], off
	global_store_b64 v[27:28], v[37:38], off
	;; [unrolled: 1-line block ×3, first 2 shown]
	v_add_nc_u32_e32 v32, 0x708, v44
	v_add_nc_u32_e32 v38, 0x1e0, v67
	v_mad_co_u64_u32 v[27:28], null, s17, v43, v[2:3]
	v_mov_b32_e32 v42, v33
	s_delay_alu instid0(VALU_DEP_4) | instskip(SKIP_2) | instid1(VALU_DEP_4)
	v_mad_co_u64_u32 v[28:29], null, s16, v32, 0
	v_add_nc_u32_e32 v39, 0x960, v44
	v_mul_hi_u32 v36, 0x1b4e81b5, v38
	v_lshlrev_b64_e32 v[23:24], 3, v[41:42]
	v_dual_mov_b32 v35, v27 :: v_dual_add_nc_u32 v40, 0xbb8, v44
	s_delay_alu instid0(VALU_DEP_4) | instskip(SKIP_1) | instid1(VALU_DEP_4)
	v_mad_co_u64_u32 v[30:31], null, s16, v39, 0
	v_mov_b32_e32 v2, v29
	v_add_co_u32 v23, vcc_lo, v0, v23
	v_lshrrev_b32_e32 v27, 6, v36
	s_wait_alu 0xfffd
	v_add_co_ci_u32_e32 v24, vcc_lo, v1, v24, vcc_lo
	v_mad_co_u64_u32 v[32:33], null, s17, v32, v[2:3]
	v_mov_b32_e32 v2, v31
	v_mul_u32_u24_e32 v31, 0x258, v27
	v_mad_co_u64_u32 v[36:37], null, s16, v40, 0
	global_store_b64 v[23:24], v[25:26], off
	v_mad_co_u64_u32 v[25:26], null, s17, v39, v[2:3]
	v_sub_nc_u32_e32 v26, v38, v31
	v_lshlrev_b64_e32 v[23:24], 3, v[34:35]
	v_dual_mov_b32 v29, v32 :: v_dual_mov_b32 v2, v37
	s_delay_alu instid0(VALU_DEP_3) | instskip(SKIP_1) | instid1(VALU_DEP_3)
	v_mad_u32_u24 v34, 0xe10, v27, v26
	v_mov_b32_e32 v31, v25
	v_lshlrev_b64_e32 v[26:27], 3, v[28:29]
	s_delay_alu instid0(VALU_DEP_4) | instskip(NEXT) | instid1(VALU_DEP_4)
	v_mad_co_u64_u32 v[28:29], null, s17, v40, v[2:3]
	v_mad_co_u64_u32 v[32:33], null, s16, v34, 0
	v_add_co_u32 v23, vcc_lo, v0, v23
	s_wait_alu 0xfffd
	v_add_co_ci_u32_e32 v24, vcc_lo, v1, v24, vcc_lo
	v_add_co_u32 v25, vcc_lo, v0, v26
	s_wait_alu 0xfffd
	v_add_co_ci_u32_e32 v26, vcc_lo, v1, v27, vcc_lo
	v_dual_mov_b32 v37, v28 :: v_dual_mov_b32 v2, v33
	global_store_b64 v[23:24], v[21:22], off
	v_lshlrev_b64_e32 v[21:22], 3, v[30:31]
	global_store_b64 v[25:26], v[15:16], off
	v_lshlrev_b64_e32 v[15:16], 3, v[36:37]
	v_mad_co_u64_u32 v[23:24], null, s17, v34, v[2:3]
	v_add_nc_u32_e32 v25, 0x258, v34
	v_add_co_u32 v21, vcc_lo, v0, v21
	s_wait_alu 0xfffd
	v_add_co_ci_u32_e32 v22, vcc_lo, v1, v22, vcc_lo
	v_add_co_u32 v15, vcc_lo, v0, v15
	s_wait_alu 0xfffd
	v_add_co_ci_u32_e32 v16, vcc_lo, v1, v16, vcc_lo
	v_mov_b32_e32 v33, v23
	v_mad_co_u64_u32 v[23:24], null, s16, v25, 0
	v_add_nc_u32_e32 v26, 0x4b0, v34
	v_add_nc_u32_e32 v28, 0x708, v34
	s_clause 0x1
	global_store_b64 v[21:22], v[19:20], off
	global_store_b64 v[15:16], v[17:18], off
	v_add_nc_u32_e32 v30, 0x960, v34
	v_mad_co_u64_u32 v[17:18], null, s16, v26, 0
	v_mad_co_u64_u32 v[19:20], null, s16, v28, 0
	v_mov_b32_e32 v2, v24
	v_lshlrev_b64_e32 v[15:16], 3, v[32:33]
	v_add_nc_u32_e32 v31, 0xbb8, v34
	s_delay_alu instid0(VALU_DEP_3)
	v_mad_co_u64_u32 v[21:22], null, s17, v25, v[2:3]
	v_mad_co_u64_u32 v[25:26], null, s17, v26, v[18:19]
	;; [unrolled: 1-line block ×3, first 2 shown]
	v_mov_b32_e32 v2, v20
	v_add_co_u32 v15, vcc_lo, v0, v15
	s_wait_alu 0xfffd
	v_add_co_ci_u32_e32 v16, vcc_lo, v1, v16, vcc_lo
	s_delay_alu instid0(VALU_DEP_3)
	v_mad_co_u64_u32 v[28:29], null, s17, v28, v[2:3]
	v_mov_b32_e32 v24, v21
	v_mad_co_u64_u32 v[21:22], null, s16, v31, 0
	v_mov_b32_e32 v2, v27
	global_store_b64 v[15:16], v[5:6], off
	v_mov_b32_e32 v18, v25
	v_lshlrev_b64_e32 v[5:6], 3, v[23:24]
	v_mov_b32_e32 v20, v28
	v_mad_co_u64_u32 v[15:16], null, s17, v30, v[2:3]
	v_mov_b32_e32 v2, v22
	v_lshlrev_b64_e32 v[16:17], 3, v[17:18]
	v_add_co_u32 v5, vcc_lo, v0, v5
	v_lshlrev_b64_e32 v[18:19], 3, v[19:20]
	s_delay_alu instid0(VALU_DEP_4)
	v_mad_co_u64_u32 v[22:23], null, s17, v31, v[2:3]
	v_mov_b32_e32 v27, v15
	s_wait_alu 0xfffd
	v_add_co_ci_u32_e32 v6, vcc_lo, v1, v6, vcc_lo
	v_add_co_u32 v15, vcc_lo, v0, v16
	s_wait_alu 0xfffd
	v_add_co_ci_u32_e32 v16, vcc_lo, v1, v17, vcc_lo
	v_lshlrev_b64_e32 v[23:24], 3, v[26:27]
	v_add_co_u32 v17, vcc_lo, v0, v18
	s_wait_alu 0xfffd
	v_add_co_ci_u32_e32 v18, vcc_lo, v1, v19, vcc_lo
	v_lshlrev_b64_e32 v[19:20], 3, v[21:22]
	s_delay_alu instid0(VALU_DEP_4) | instskip(SKIP_2) | instid1(VALU_DEP_3)
	v_add_co_u32 v21, vcc_lo, v0, v23
	s_wait_alu 0xfffd
	v_add_co_ci_u32_e32 v22, vcc_lo, v1, v24, vcc_lo
	v_add_co_u32 v0, vcc_lo, v0, v19
	s_wait_alu 0xfffd
	v_add_co_ci_u32_e32 v1, vcc_lo, v1, v20, vcc_lo
	s_clause 0x4
	global_store_b64 v[5:6], v[13:14], off
	global_store_b64 v[15:16], v[11:12], off
	;; [unrolled: 1-line block ×5, first 2 shown]
.LBB0_15:
	s_nop 0
	s_sendmsg sendmsg(MSG_DEALLOC_VGPRS)
	s_endpgm
	.section	.rodata,"a",@progbits
	.p2align	6, 0x0
	.amdhsa_kernel fft_rtc_fwd_len3600_factors_10_10_6_6_wgs_120_tpt_120_halfLds_sp_op_CI_CI_sbrr_dirReg
		.amdhsa_group_segment_fixed_size 0
		.amdhsa_private_segment_fixed_size 0
		.amdhsa_kernarg_size 104
		.amdhsa_user_sgpr_count 2
		.amdhsa_user_sgpr_dispatch_ptr 0
		.amdhsa_user_sgpr_queue_ptr 0
		.amdhsa_user_sgpr_kernarg_segment_ptr 1
		.amdhsa_user_sgpr_dispatch_id 0
		.amdhsa_user_sgpr_private_segment_size 0
		.amdhsa_wavefront_size32 1
		.amdhsa_uses_dynamic_stack 0
		.amdhsa_enable_private_segment 0
		.amdhsa_system_sgpr_workgroup_id_x 1
		.amdhsa_system_sgpr_workgroup_id_y 0
		.amdhsa_system_sgpr_workgroup_id_z 0
		.amdhsa_system_sgpr_workgroup_info 0
		.amdhsa_system_vgpr_workitem_id 0
		.amdhsa_next_free_vgpr 140
		.amdhsa_next_free_sgpr 43
		.amdhsa_reserve_vcc 1
		.amdhsa_float_round_mode_32 0
		.amdhsa_float_round_mode_16_64 0
		.amdhsa_float_denorm_mode_32 3
		.amdhsa_float_denorm_mode_16_64 3
		.amdhsa_fp16_overflow 0
		.amdhsa_workgroup_processor_mode 1
		.amdhsa_memory_ordered 1
		.amdhsa_forward_progress 0
		.amdhsa_round_robin_scheduling 0
		.amdhsa_exception_fp_ieee_invalid_op 0
		.amdhsa_exception_fp_denorm_src 0
		.amdhsa_exception_fp_ieee_div_zero 0
		.amdhsa_exception_fp_ieee_overflow 0
		.amdhsa_exception_fp_ieee_underflow 0
		.amdhsa_exception_fp_ieee_inexact 0
		.amdhsa_exception_int_div_zero 0
	.end_amdhsa_kernel
	.text
.Lfunc_end0:
	.size	fft_rtc_fwd_len3600_factors_10_10_6_6_wgs_120_tpt_120_halfLds_sp_op_CI_CI_sbrr_dirReg, .Lfunc_end0-fft_rtc_fwd_len3600_factors_10_10_6_6_wgs_120_tpt_120_halfLds_sp_op_CI_CI_sbrr_dirReg
                                        ; -- End function
	.section	.AMDGPU.csdata,"",@progbits
; Kernel info:
; codeLenInByte = 19732
; NumSgprs: 45
; NumVgprs: 140
; ScratchSize: 0
; MemoryBound: 0
; FloatMode: 240
; IeeeMode: 1
; LDSByteSize: 0 bytes/workgroup (compile time only)
; SGPRBlocks: 5
; VGPRBlocks: 17
; NumSGPRsForWavesPerEU: 45
; NumVGPRsForWavesPerEU: 140
; Occupancy: 10
; WaveLimiterHint : 1
; COMPUTE_PGM_RSRC2:SCRATCH_EN: 0
; COMPUTE_PGM_RSRC2:USER_SGPR: 2
; COMPUTE_PGM_RSRC2:TRAP_HANDLER: 0
; COMPUTE_PGM_RSRC2:TGID_X_EN: 1
; COMPUTE_PGM_RSRC2:TGID_Y_EN: 0
; COMPUTE_PGM_RSRC2:TGID_Z_EN: 0
; COMPUTE_PGM_RSRC2:TIDIG_COMP_CNT: 0
	.text
	.p2alignl 7, 3214868480
	.fill 96, 4, 3214868480
	.type	__hip_cuid_f2ed54014d85002,@object ; @__hip_cuid_f2ed54014d85002
	.section	.bss,"aw",@nobits
	.globl	__hip_cuid_f2ed54014d85002
__hip_cuid_f2ed54014d85002:
	.byte	0                               ; 0x0
	.size	__hip_cuid_f2ed54014d85002, 1

	.ident	"AMD clang version 19.0.0git (https://github.com/RadeonOpenCompute/llvm-project roc-6.4.0 25133 c7fe45cf4b819c5991fe208aaa96edf142730f1d)"
	.section	".note.GNU-stack","",@progbits
	.addrsig
	.addrsig_sym __hip_cuid_f2ed54014d85002
	.amdgpu_metadata
---
amdhsa.kernels:
  - .args:
      - .actual_access:  read_only
        .address_space:  global
        .offset:         0
        .size:           8
        .value_kind:     global_buffer
      - .offset:         8
        .size:           8
        .value_kind:     by_value
      - .actual_access:  read_only
        .address_space:  global
        .offset:         16
        .size:           8
        .value_kind:     global_buffer
      - .actual_access:  read_only
        .address_space:  global
        .offset:         24
        .size:           8
        .value_kind:     global_buffer
      - .actual_access:  read_only
        .address_space:  global
        .offset:         32
        .size:           8
        .value_kind:     global_buffer
      - .offset:         40
        .size:           8
        .value_kind:     by_value
      - .actual_access:  read_only
        .address_space:  global
        .offset:         48
        .size:           8
        .value_kind:     global_buffer
      - .actual_access:  read_only
        .address_space:  global
        .offset:         56
        .size:           8
        .value_kind:     global_buffer
      - .offset:         64
        .size:           4
        .value_kind:     by_value
      - .actual_access:  read_only
        .address_space:  global
        .offset:         72
        .size:           8
        .value_kind:     global_buffer
      - .actual_access:  read_only
        .address_space:  global
        .offset:         80
        .size:           8
        .value_kind:     global_buffer
      - .actual_access:  read_only
        .address_space:  global
        .offset:         88
        .size:           8
        .value_kind:     global_buffer
      - .actual_access:  write_only
        .address_space:  global
        .offset:         96
        .size:           8
        .value_kind:     global_buffer
    .group_segment_fixed_size: 0
    .kernarg_segment_align: 8
    .kernarg_segment_size: 104
    .language:       OpenCL C
    .language_version:
      - 2
      - 0
    .max_flat_workgroup_size: 120
    .name:           fft_rtc_fwd_len3600_factors_10_10_6_6_wgs_120_tpt_120_halfLds_sp_op_CI_CI_sbrr_dirReg
    .private_segment_fixed_size: 0
    .sgpr_count:     45
    .sgpr_spill_count: 0
    .symbol:         fft_rtc_fwd_len3600_factors_10_10_6_6_wgs_120_tpt_120_halfLds_sp_op_CI_CI_sbrr_dirReg.kd
    .uniform_work_group_size: 1
    .uses_dynamic_stack: false
    .vgpr_count:     140
    .vgpr_spill_count: 0
    .wavefront_size: 32
    .workgroup_processor_mode: 1
amdhsa.target:   amdgcn-amd-amdhsa--gfx1201
amdhsa.version:
  - 1
  - 2
...

	.end_amdgpu_metadata
